;; amdgpu-corpus repo=ROCm/Tensile kind=harvested arch=n/a opt=n/a

/******************************************/
/* Function Prefix                        */
/******************************************/



/******************************************/
/* Begin Kernel                           */
/******************************************/

// Component.Signature.SignatureDefault
.amdgcn_target "amdgcn-amd-amdhsa--gfx942"
.text
.protected Cijk_Alik_Bjlk_DB_MT64x128x16_MI16x16x4x1_SN_1LDSB1_APM1_AF0EM1_AF1EM1_AMAS0_ASE_ASGT_ASLT_ASM_ASAE01_ASCE01_ASEM1_BL0_BS0_CLR0_DTVA0_DTVB0_ETSP_EPS0_ELFLR0_EMLL0_FSSC10_FL0_GLVWA2_GLVWB2_GRCGA1_GRPM1_GRVW2_GSU1_GSUASB_GLS0_IU1_K1_LBSPPA0_LBSPPB0_LPA1_LPB0_LRVW1_LWPMn1_MIAV0_MKFGSU256_NTA0_NTB0_NTC3_NTD3_NEPBS1_NLCA1_NLCB1_ONLL1_PGR2_PLR5_PKA0_SIA3_SLW1_SS1_SU0_SUM0_SUS0_SPO1_SRVW0_SSO8_SVW1_TSGRA0_TSGRB0_TT4_32_TLDS0_UMLDSA0_UMLDSB0_USFGROn1_VAW1_VSn1_VW1_VWB1_VFLRP0_WSGRA0_WSGRB0_WG16_16_1_WGM18
.globl Cijk_Alik_Bjlk_DB_MT64x128x16_MI16x16x4x1_SN_1LDSB1_APM1_AF0EM1_AF1EM1_AMAS0_ASE_ASGT_ASLT_ASM_ASAE01_ASCE01_ASEM1_BL0_BS0_CLR0_DTVA0_DTVB0_ETSP_EPS0_ELFLR0_EMLL0_FSSC10_FL0_GLVWA2_GLVWB2_GRCGA1_GRPM1_GRVW2_GSU1_GSUASB_GLS0_IU1_K1_LBSPPA0_LBSPPB0_LPA1_LPB0_LRVW1_LWPMn1_MIAV0_MKFGSU256_NTA0_NTB0_NTC3_NTD3_NEPBS1_NLCA1_NLCB1_ONLL1_PGR2_PLR5_PKA0_SIA3_SLW1_SS1_SU0_SUM0_SUS0_SPO1_SRVW0_SSO8_SVW1_TSGRA0_TSGRB0_TT4_32_TLDS0_UMLDSA0_UMLDSB0_USFGROn1_VAW1_VSn1_VW1_VWB1_VFLRP0_WSGRA0_WSGRB0_WG16_16_1_WGM18
.p2align 8
.type Cijk_Alik_Bjlk_DB_MT64x128x16_MI16x16x4x1_SN_1LDSB1_APM1_AF0EM1_AF1EM1_AMAS0_ASE_ASGT_ASLT_ASM_ASAE01_ASCE01_ASEM1_BL0_BS0_CLR0_DTVA0_DTVB0_ETSP_EPS0_ELFLR0_EMLL0_FSSC10_FL0_GLVWA2_GLVWB2_GRCGA1_GRPM1_GRVW2_GSU1_GSUASB_GLS0_IU1_K1_LBSPPA0_LBSPPB0_LPA1_LPB0_LRVW1_LWPMn1_MIAV0_MKFGSU256_NTA0_NTB0_NTC3_NTD3_NEPBS1_NLCA1_NLCB1_ONLL1_PGR2_PLR5_PKA0_SIA3_SLW1_SS1_SU0_SUM0_SUS0_SPO1_SRVW0_SSO8_SVW1_TSGRA0_TSGRB0_TT4_32_TLDS0_UMLDSA0_UMLDSB0_USFGROn1_VAW1_VSn1_VW1_VWB1_VFLRP0_WSGRA0_WSGRB0_WG16_16_1_WGM18,@function
.section .rodata,#alloc
.p2align 6
.amdhsa_kernel Cijk_Alik_Bjlk_DB_MT64x128x16_MI16x16x4x1_SN_1LDSB1_APM1_AF0EM1_AF1EM1_AMAS0_ASE_ASGT_ASLT_ASM_ASAE01_ASCE01_ASEM1_BL0_BS0_CLR0_DTVA0_DTVB0_ETSP_EPS0_ELFLR0_EMLL0_FSSC10_FL0_GLVWA2_GLVWB2_GRCGA1_GRPM1_GRVW2_GSU1_GSUASB_GLS0_IU1_K1_LBSPPA0_LBSPPB0_LPA1_LPB0_LRVW1_LWPMn1_MIAV0_MKFGSU256_NTA0_NTB0_NTC3_NTD3_NEPBS1_NLCA1_NLCB1_ONLL1_PGR2_PLR5_PKA0_SIA3_SLW1_SS1_SU0_SUM0_SUS0_SPO1_SRVW0_SSO8_SVW1_TSGRA0_TSGRB0_TT4_32_TLDS0_UMLDSA0_UMLDSB0_USFGROn1_VAW1_VSn1_VW1_VWB1_VFLRP0_WSGRA0_WSGRB0_WG16_16_1_WGM18
  .amdhsa_user_sgpr_kernarg_segment_ptr 1
  .amdhsa_user_sgpr_kernarg_preload_offset 0
  .amdhsa_user_sgpr_kernarg_preload_length 0
  .amdhsa_user_sgpr_count 2
  .amdhsa_accum_offset 192 // accvgpr offset
  .amdhsa_next_free_vgpr 256 // vgprs
  .amdhsa_next_free_sgpr 46 // sgprs
  .amdhsa_group_segment_fixed_size 24832 // lds bytes
  .amdhsa_private_segment_fixed_size 0
  .amdhsa_system_sgpr_workgroup_id_x 1
  .amdhsa_system_sgpr_workgroup_id_y 1
  .amdhsa_system_sgpr_workgroup_id_z 1
  .amdhsa_system_vgpr_workitem_id 0
  .amdhsa_float_denorm_mode_32 3
  .amdhsa_float_denorm_mode_16_64 3
.end_amdhsa_kernel
.text

/******************************************/
/* Optimizations and Config:              */
/******************************************/
/* ThreadTile= 16 x 2 */
/* SubGroup= 4 x 64 */
/* VectorWidthA=1 */
/* VectorWidthB=1 */
/* GlobalLoadVectorWidthA=2, GlobalLoadVectorWidthB=2 */
/* DirectToLdsA=False */
/* DirectToLdsB=False */
/* UseSgprForGRO=False */
.amdgpu_metadata
---
amdhsa.version:
  - 1
  - 1
amdhsa.target: amdgcn-amd-amdhsa--gfx942
amdhsa.kernels:
  - .name: Cijk_Alik_Bjlk_DB_MT64x128x16_MI16x16x4x1_SN_1LDSB1_APM1_AF0EM1_AF1EM1_AMAS0_ASE_ASGT_ASLT_ASM_ASAE01_ASCE01_ASEM1_BL0_BS0_CLR0_DTVA0_DTVB0_ETSP_EPS0_ELFLR0_EMLL0_FSSC10_FL0_GLVWA2_GLVWB2_GRCGA1_GRPM1_GRVW2_GSU1_GSUASB_GLS0_IU1_K1_LBSPPA0_LBSPPB0_LPA1_LPB0_LRVW1_LWPMn1_MIAV0_MKFGSU256_NTA0_NTB0_NTC3_NTD3_NEPBS1_NLCA1_NLCB1_ONLL1_PGR2_PLR5_PKA0_SIA3_SLW1_SS1_SU0_SUM0_SUS0_SPO1_SRVW0_SSO8_SVW1_TSGRA0_TSGRB0_TT4_32_TLDS0_UMLDSA0_UMLDSB0_USFGROn1_VAW1_VSn1_VW1_VWB1_VFLRP0_WSGRA0_WSGRB0_WG16_16_1_WGM18
    .symbol: 'Cijk_Alik_Bjlk_DB_MT64x128x16_MI16x16x4x1_SN_1LDSB1_APM1_AF0EM1_AF1EM1_AMAS0_ASE_ASGT_ASLT_ASM_ASAE01_ASCE01_ASEM1_BL0_BS0_CLR0_DTVA0_DTVB0_ETSP_EPS0_ELFLR0_EMLL0_FSSC10_FL0_GLVWA2_GLVWB2_GRCGA1_GRPM1_GRVW2_GSU1_GSUASB_GLS0_IU1_K1_LBSPPA0_LBSPPB0_LPA1_LPB0_LRVW1_LWPMn1_MIAV0_MKFGSU256_NTA0_NTB0_NTC3_NTD3_NEPBS1_NLCA1_NLCB1_ONLL1_PGR2_PLR5_PKA0_SIA3_SLW1_SS1_SU0_SUM0_SUS0_SPO1_SRVW0_SSO8_SVW1_TSGRA0_TSGRB0_TT4_32_TLDS0_UMLDSA0_UMLDSB0_USFGROn1_VAW1_VSn1_VW1_VWB1_VFLRP0_WSGRA0_WSGRB0_WG16_16_1_WGM18.kd'
    .language:                   OpenCL C
    .language_version:
      - 2
      - 0
    .args:
      - .name:            Tensor2dSizeA
        .size:            8
        .offset:          0
        .value_kind:      by_value
        .value_type:      u64
      - .name:            Tensor2dSizeB
        .size:            8
        .offset:          8
        .value_kind:      by_value
        .value_type:      u64
      - .name:            AddressD
        .size:            8
        .offset:          16
        .value_kind:      by_value
        .value_type:      u64
      - .name:            AddressC
        .size:            8
        .offset:          24
        .value_kind:      by_value
        .value_type:      u64
      - .name:            AddressA
        .size:            8
        .offset:          32
        .value_kind:      by_value
        .value_type:      u64
      - .name:            AddressB
        .size:            8
        .offset:          40
        .value_kind:      by_value
        .value_type:      u64
      - .name:            Alpha
        .size:            8
        .offset:          48
        .value_kind:      by_value
        .value_type:      u64
      - .name:            Beta
        .size:            8
        .offset:          56
        .value_kind:      by_value
        .value_type:      u64
      - .name:            StridesD
        .size:            8
        .offset:          64
        .value_kind:      by_value
        .value_type:      u64
      - .name:            StridesC
        .size:            8
        .offset:          72
        .value_kind:      by_value
        .value_type:      u64
      - .name:            StridesA
        .size:            8
        .offset:          80
        .value_kind:      by_value
        .value_type:      u64
      - .name:            StridesB
        .size:            8
        .offset:          88
        .value_kind:      by_value
        .value_type:      u64
      - .name:            SizesFree
        .size:            12
        .offset:          96
        .value_kind:      by_value
        .value_type:      u96
      - .name:            SizesSum
        .size:            4
        .offset:          108
        .value_kind:      by_value
        .value_type:      u32
      - .name:            NumWorkGroups0
        .size:            4
        .offset:          112
        .value_kind:      by_value
        .value_type:      u32
      - .name:            NumWorkGroups1
        .size:            4
        .offset:          116
        .value_kind:      by_value
        .value_type:      u32
      - .name:            NumFullBlocks
        .size:            4
        .offset:          120
        .value_kind:      by_value
        .value_type:      u32
      - .name:            WgmRemainder1
        .size:            4
        .offset:          124
        .value_kind:      by_value
        .value_type:      u32
      - .name:            MagicNumberWgmRemainder1
        .size:            4
        .offset:          128
        .value_kind:      by_value
        .value_type:      u32
    .group_segment_fixed_size:   24832
    .kernarg_segment_align:      8
    .kernarg_segment_size:       136
    .max_flat_workgroup_size:    256
    .private_segment_fixed_size: 0
    .sgpr_count:                 46
    .sgpr_spill_count:           0
    .vgpr_count:                 192
    .vgpr_spill_count:           0
    .wavefront_size:             64
...
.end_amdgpu_metadata
Cijk_Alik_Bjlk_DB_MT64x128x16_MI16x16x4x1_SN_1LDSB1_APM1_AF0EM1_AF1EM1_AMAS0_ASE_ASGT_ASLT_ASM_ASAE01_ASCE01_ASEM1_BL0_BS0_CLR0_DTVA0_DTVB0_ETSP_EPS0_ELFLR0_EMLL0_FSSC10_FL0_GLVWA2_GLVWB2_GRCGA1_GRPM1_GRVW2_GSU1_GSUASB_GLS0_IU1_K1_LBSPPA0_LBSPPB0_LPA1_LPB0_LRVW1_LWPMn1_MIAV0_MKFGSU256_NTA0_NTB0_NTC3_NTD3_NEPBS1_NLCA1_NLCB1_ONLL1_PGR2_PLR5_PKA0_SIA3_SLW1_SS1_SU0_SUM0_SUS0_SPO1_SRVW0_SSO8_SVW1_TSGRA0_TSGRB0_TT4_32_TLDS0_UMLDSA0_UMLDSB0_USFGROn1_VAW1_VSn1_VW1_VWB1_VFLRP0_WSGRA0_WSGRB0_WG16_16_1_WGM18:

/******************************************/
/* Asm syntax workarounds                 */
/******************************************/
.macro _v_add_co_u32 dst:req, cc:req, src0:req, src1:req, dpp=
   v_add_co_u32 \dst, \cc, \src0, \src1 \dpp
.endm

.macro _v_add_u32 dst:req, src0:req, src1:req, dpp=
   v_add_u32 \dst, \src0, \src1 \dpp
.endm

.macro _v_add_i32 dst:req, src0:req, src1:req, dpp=
   v_add_i32 \dst, \src0, \src1 \dpp
.endm

.macro _v_addc_co_u32 dst:req, ccOut:req, src0:req, ccIn:req, src1:req, dpp=
   v_addc_co_u32 \dst, \ccOut, \src0, \ccIn, \src1 \dpp
.endm

.macro _v_sub_co_u32 dst:req, cc:req, src0:req, src1:req, dpp=
   v_sub_co_u32 \dst, \cc, \src0, \src1 \dpp
.endm

.macro _v_sub_u32 dst:req, src0:req, src1:req, dpp=
   v_sub_u32 \dst, \src0, \src1 \dpp
.endm

.macro _v_sub_i32 dst:req, src0:req, src1:req, dpp=
   v_sub_i32 \dst, \src0, \src1 \dpp
.endm

.macro _v_add_lshl_u32 dst:req, src0:req, src1:req, shiftCnt:req
    v_add_lshl_u32 \dst, \src0, \src1, \shiftCnt
.endm

.macro _v_lshl_add_u32 dst:req, src0:req, src1:req, shiftCnt:req
    v_lshl_add_u32 \dst, \src0, \src1, \shiftCnt
.endm

.macro _v_lshl_or_b32 dst:req, src0:req, shiftCnt:req, src1:req
    v_lshl_or_b32 \dst, \src0, \shiftCnt, \src1
.endm

.macro _v_dot2acc_f32_f16 dst, src0, src1
v_dot2c_f32_f16 \dst, \src0, \src1
.endm

.macro _v_cmpx_lt_i16 dst, src0, src1=
   v_cmpx_lt_i16 \dst, \src0, \src1 
.endm

.macro _v_cmpx_lt_i32 dst, src0, src1=
   v_cmpx_lt_i32 \dst, \src0, \src1 
.endm

.macro _v_cmpx_lt_i64 dst, src0, src1=
   v_cmpx_lt_i64 \dst, \src0, \src1 
.endm

.macro _v_cmpx_lt_u16 dst, src0, src1=
   v_cmpx_lt_u16 \dst, \src0, \src1 
.endm

.macro _v_cmpx_lt_u32 dst, src0, src1=
   v_cmpx_lt_u32 \dst, \src0, \src1 
.endm

.macro _v_cmpx_lt_u64 dst, src0, src1=
   v_cmpx_lt_u64 \dst, \src0, \src1 
.endm

.macro _v_cmpx_eq_i16 dst, src0, src1=
   v_cmpx_eq_i16 \dst, \src0, \src1 
.endm

.macro _v_cmpx_eq_i32 dst, src0, src1=
   v_cmpx_eq_i32 \dst, \src0, \src1 
.endm

.macro _v_cmpx_eq_i64 dst, src0, src1=
   v_cmpx_eq_i64 \dst, \src0, \src1 
.endm

.macro _v_cmpx_eq_u16 dst, src0, src1=
   v_cmpx_eq_u16 \dst, \src0, \src1 
.endm

.macro _v_cmpx_eq_u32 dst, src0, src1=
   v_cmpx_eq_u32 \dst, \src0, \src1 
.endm

.macro _v_cmpx_eq_u64 dst, src0, src1=
   v_cmpx_eq_u64 \dst, \src0, \src1 
.endm

.macro _v_cmpx_le_i16 dst, src0, src1=
   v_cmpx_le_i16 \dst, \src0, \src1 
.endm

.macro _v_cmpx_le_i32 dst, src0, src1=
   v_cmpx_le_i32 \dst, \src0, \src1 
.endm

.macro _v_cmpx_le_i64 dst, src0, src1=
   v_cmpx_le_i64 \dst, \src0, \src1 
.endm

.macro _v_cmpx_le_u16 dst, src0, src1=
   v_cmpx_le_u16 \dst, \src0, \src1 
.endm

.macro _v_cmpx_le_u32 dst, src0, src1=
   v_cmpx_le_u32 \dst, \src0, \src1 
.endm

.macro _v_cmpx_le_u64 dst, src0, src1=
   v_cmpx_le_u64 \dst, \src0, \src1 
.endm

.macro _v_cmpx_gt_i16 dst, src0, src1=
   v_cmpx_gt_i16 \dst, \src0, \src1 
.endm

.macro _v_cmpx_gt_i32 dst, src0, src1=
   v_cmpx_gt_i32 \dst, \src0, \src1 
.endm

.macro _v_cmpx_gt_i64 dst, src0, src1=
   v_cmpx_gt_i64 \dst, \src0, \src1 
.endm

.macro _v_cmpx_gt_u16 dst, src0, src1=
   v_cmpx_gt_u16 \dst, \src0, \src1 
.endm

.macro _v_cmpx_gt_u32 dst, src0, src1=
   v_cmpx_gt_u32 \dst, \src0, \src1 
.endm

.macro _v_cmpx_gt_u64 dst, src0, src1=
   v_cmpx_gt_u64 \dst, \src0, \src1 
.endm

.macro _v_cmpx_ne_i16 dst, src0, src1=
   v_cmpx_ne_i16 \dst, \src0, \src1 
.endm

.macro _v_cmpx_ne_i32 dst, src0, src1=
   v_cmpx_ne_i32 \dst, \src0, \src1 
.endm

.macro _v_cmpx_ne_i64 dst, src0, src1=
   v_cmpx_ne_i64 \dst, \src0, \src1 
.endm

.macro _v_cmpx_ne_u16 dst, src0, src1=
   v_cmpx_ne_u16 \dst, \src0, \src1 
.endm

.macro _v_cmpx_ne_u32 dst, src0, src1=
   v_cmpx_ne_u32 \dst, \src0, \src1 
.endm

.macro _v_cmpx_ne_u64 dst, src0, src1=
   v_cmpx_ne_u64 \dst, \src0, \src1 
.endm

.macro _v_cmpx_lg_i16 dst, src0, src1=
   v_cmpx_lg_i16 \dst, \src0, \src1 
.endm

.macro _v_cmpx_lg_i32 dst, src0, src1=
   v_cmpx_lg_i32 \dst, \src0, \src1 
.endm

.macro _v_cmpx_lg_i64 dst, src0, src1=
   v_cmpx_lg_i64 \dst, \src0, \src1 
.endm

.macro _v_cmpx_lg_u16 dst, src0, src1=
   v_cmpx_lg_u16 \dst, \src0, \src1 
.endm

.macro _v_cmpx_lg_u32 dst, src0, src1=
   v_cmpx_lg_u32 \dst, \src0, \src1 
.endm

.macro _v_cmpx_lg_u64 dst, src0, src1=
   v_cmpx_lg_u64 \dst, \src0, \src1 
.endm

.macro _v_cmpx_ge_i16 dst, src0, src1=
   v_cmpx_ge_i16 \dst, \src0, \src1 
.endm

.macro _v_cmpx_ge_i32 dst, src0, src1=
   v_cmpx_ge_i32 \dst, \src0, \src1 
.endm

.macro _v_cmpx_ge_i64 dst, src0, src1=
   v_cmpx_ge_i64 \dst, \src0, \src1 
.endm

.macro _v_cmpx_ge_u16 dst, src0, src1=
   v_cmpx_ge_u16 \dst, \src0, \src1 
.endm

.macro _v_cmpx_ge_u32 dst, src0, src1=
   v_cmpx_ge_u32 \dst, \src0, \src1 
.endm

.macro _v_cmpx_ge_u64 dst, src0, src1=
   v_cmpx_ge_u64 \dst, \src0, \src1 
.endm

.macro _v_cmpx_o_i16 dst, src0, src1=
   v_cmpx_o_i16 \dst, \src0, \src1 
.endm

.macro _v_cmpx_o_i32 dst, src0, src1=
   v_cmpx_o_i32 \dst, \src0, \src1 
.endm

.macro _v_cmpx_o_i64 dst, src0, src1=
   v_cmpx_o_i64 \dst, \src0, \src1 
.endm

.macro _v_cmpx_o_u16 dst, src0, src1=
   v_cmpx_o_u16 \dst, \src0, \src1 
.endm

.macro _v_cmpx_o_u32 dst, src0, src1=
   v_cmpx_o_u32 \dst, \src0, \src1 
.endm

.macro _v_cmpx_o_u64 dst, src0, src1=
   v_cmpx_o_u64 \dst, \src0, \src1 
.endm

.macro _v_cmpx_u_i16 dst, src0, src1=
   v_cmpx_u_i16 \dst, \src0, \src1 
.endm

.macro _v_cmpx_u_i32 dst, src0, src1=
   v_cmpx_u_i32 \dst, \src0, \src1 
.endm

.macro _v_cmpx_u_i64 dst, src0, src1=
   v_cmpx_u_i64 \dst, \src0, \src1 
.endm

.macro _v_cmpx_u_u16 dst, src0, src1=
   v_cmpx_u_u16 \dst, \src0, \src1 
.endm

.macro _v_cmpx_u_u32 dst, src0, src1=
   v_cmpx_u_u32 \dst, \src0, \src1 
.endm

.macro _v_cmpx_u_u64 dst, src0, src1=
   v_cmpx_u_u64 \dst, \src0, \src1 
.endm
.macro _v_mac_f32 c:req, a:req, b:req
    v_fmac_f32 \c, \a, \b
.endmacro

/* scale global load macros */
.macro _s_load_b32 dst base offset
    s_load_dword \dst \base \offset
.endm

.macro _s_load_b64 dst base offset
    s_load_dwordx2 \dst \base \offset
.endm

.macro _s_load_b128 dst base offset
    s_load_dwordx4 \dst \base \offset
.endm

.macro _s_load_b256 dst base offset
    s_load_dwordx8 \dst \base \offset
.endm

.macro _s_load_b512 dst base offset
    s_load_dwordx16 \dst \base \offset
.endm


/* ds operation macros */
.macro _ds_load_u8 dst src offset
    ds_read_u8 \dst \src \offset
.endm

.macro _ds_load_u8_d16_hi dst src offset
    ds_read_u8_d16_hi \dst \src \offset
.endm

.macro _ds_load_u16 dst src offset
    ds_read_u16 \dst \src \offset
.endm

.macro _ds_load_u16_d16_hi dst src offset
    ds_read_u16_d16_hi \dst \src \offset
.endm

.macro _ds_load_b32 dst src offset
    ds_read_b32 \dst \src \offset
.endm

.macro _ds_load_b64 dst src offset
    ds_read_b64 \dst \src \offset
.endm

.macro _ds_load_b128 dst src offset
    ds_read_b128 \dst \src \offset
.endm

.macro _ds_store_b8 dst src offset
    ds_write_b8 \dst \src \offset
.endm

.macro _ds_store_b8_d16_hi dst src offset
    ds_write_b8_d16_hi \dst \src \offset
.endm

.macro _ds_store_b16 dst src offset
    ds_write_b16 \dst \src \offset
.endm

.macro _ds_store_b16_d16_hi dst src offset
    ds_write_b16_d16_hi \dst \src \offset
.endm

.macro _ds_store_b32 dst src offset
    ds_write_b32 \dst \src \offset
.endm

.macro _ds_store_b64 dst src offset
    ds_write_b64 \dst \src \offset
.endm

.macro _ds_store_b128 dst src offset
    ds_write_b128 \dst \src \offset
.endm

.macro _ds_load2_b32 dst src offset1 offset2
    ds_read2_b32 \dst \src \offset1 \offset2
.endm

.macro _ds_load2_b64 dst src offset1 offset2
    ds_read2_b64 \dst \src \offset1 \offset2
.endm

.macro _ds_store2_b32 dst src offset1 offset2
    ds_write2_b32 \dst \src \offset1 \offset2
.endm

.macro _ds_store2_b64 dst src offset1 offset2
    ds_write2_b64 \dst \src \offset1 \offset2
.endm


/* buffer memory operation macros */
.macro _buffer_load_b32 dst voffset base soffset offen ioffset md0 md1 md2
    buffer_load_dword \dst \voffset \base \soffset \offen \ioffset \md0 \md1 \md2
.endm

.macro _buffer_load_b64 dst voffset base soffset offen ioffset md0 md1 md2
    buffer_load_dwordx2 \dst \voffset \base \soffset \offen \ioffset \md0 \md1 \md2
.endm

.macro _buffer_load_b96 dst voffset base soffset offen ioffset md0 md1 md2
    buffer_load_dwordx3 \dst \voffset \base \soffset \offen \ioffset \md0 \md1 \md2
.endm

.macro _buffer_load_b128 dst voffset base soffset offen ioffset md0 md1 md2
    buffer_load_dwordx4 \dst \voffset \base \soffset \offen \ioffset \md0 \md1 \md2
.endm

.macro _buffer_load_d16_b16 dst voffset base soffset offen ioffset md0 md1 md2
    buffer_load_short_d16 \dst \voffset \base \soffset \offen \ioffset \md0 \md1 \md2
.endm

.macro _buffer_load_d16_hi_b16 dst voffset base soffset offen ioffset md0 md1 md2
    buffer_load_short_d16_hi \dst \voffset \base \soffset \offen \ioffset \md0 \md1 \md2
.endm

.macro _buffer_load_d16_u8 dst voffset base soffset offen ioffset md0 md1 md2
    buffer_load_ubyte_d16 \dst \voffset \base \soffset \offen \ioffset \md0 \md1 \md2
.endm

.macro _buffer_load_d16_hi_u8 dst voffset base soffset offen ioffset md0 md1 md2
    buffer_load_ubyte_d16_hi \dst \voffset \base \soffset \offen \ioffset \md0 \md1 \md2
.endm

.macro _buffer_load_u16 dst voffset base soffset offen ioffset md0 md1 md2
    buffer_load_ushort \dst \voffset \base \soffset \offen \ioffset \md0 \md1 \md2
.endm

.macro _buffer_load_b32_dtl voffset base soffset offen ioffset md0 md1 md2
    buffer_load_dword \voffset \base \soffset \offen \ioffset \md0 \md1 \md2
.endm

.macro _buffer_load_b64_dtl voffset base soffset offen ioffset md0 md1 md2
    buffer_load_dwordx2 \voffset \base \soffset \offen \ioffset \md0 \md1 \md2
.endm

.macro _buffer_load_b128_dtl voffset base soffset offen ioffset md0 md1 md2
    buffer_load_dwordx4 \voffset \base \soffset \offen \ioffset \md0 \md1 \md2
.endm

.macro _buffer_load_u16_dtl voffset base soffset offen ioffset md0 md1 md2
    buffer_load_ushort \voffset \base \soffset \offen \ioffset \md0 \md1 \md2
.endm

.macro _buffer_store_b32 src voffset base soffset offen ioffset md0 md1 md2
    buffer_store_dword \src \voffset \base \soffset \offen \ioffset \md0 \md1 \md2
.endm

.macro _buffer_store_b64 src voffset base soffset offen ioffset md0 md1 md2
    buffer_store_dwordx2 \src \voffset \base \soffset \offen \ioffset \md0 \md1 \md2
.endm

.macro _buffer_store_b96 src voffset base soffset offen ioffset md0 md1 md2
    buffer_store_dwordx3 \src \voffset \base \soffset \offen \ioffset \md0 \md1 \md2
.endm

.macro _buffer_store_b128 src voffset base soffset offen ioffset md0 md1 md2
    buffer_store_dwordx4 \src \voffset \base \soffset \offen \ioffset \md0 \md1 \md2
.endm

.macro _buffer_store_b16 src voffset base soffset offen ioffset md0 md1 md2
    buffer_store_short \src \voffset \base \soffset \offen \ioffset \md0 \md1 \md2
.endm

.macro _buffer_store_d16_hi_b16 src voffset base soffset offen ioffset md0 md1 md2
    buffer_store_short_d16_hi \src \voffset \base \soffset \offen \ioffset \md0 \md1 \md2
.endm

.macro _buffer_store_b8 src voffset base soffset offen ioffset md0 md1 md2
    buffer_store_byte \src \voffset \base \soffset \offen \ioffset \md0 \md1 \md2
.endm

.macro _buffer_store_d16_hi_b8 src voffset base soffset offen ioffset md0 md1 md2
    buffer_store_byte_d16_hi \src \voffset \base \soffset \offen \ioffset \md0 \md1 \md2
.endm

.macro _buffer_atomic_cmpswap_b32 dst voffset base soffset offen ioffset md0 md1 md2
    buffer_atomic_cmpswap \dst \voffset \base \soffset \offen \ioffset \md0 \md1 \md2
.endm

.macro _buffer_atomic_cmpswap_b64 dst voffset base soffset offen ioffset md0 md1 md2
    buffer_atomic_cmpswap_x2 \dst \voffset \base \soffset \offen \ioffset \md0 \md1 \md2
.endm


/* buffer memory operation macros */
.macro _global_load_b32 dst base src ioffset md0 md1 md2
    global_load_dword \dst \base \src \ioffset \md0 \md1 \md2
.endm

.macro _global_load_b64 dst base src ioffset md0 md1 md2
    global_load_dwordx2 \dst \base \src \ioffset \md0 \md1 \md2
.endm

.macro _global_load_b96 dst base src ioffset md0 md1 md2
    global_load_dwordx3 \dst \base \src \ioffset \md0 \md1 \md2
.endm

.macro _global_load_b128 dst base src ioffset md0 md1 md2
    global_load_dwordx4 \dst \base \src \ioffset \md0 \md1 \md2
.endm

.macro _global_load_d16_b16 dst base src ioffset md0 md1 md2
    global_load_short_d16 \dst \base \src \ioffset \md0 \md1 \md2
.endm

.macro _global_load_d16_hi_b16 dst base src ioffset md0 md1 md2
    global_load_short_d16_hi \dst \base \src \ioffset \md0 \md1 \md2
.endm

.macro _global_load_d16_u8 dst base src ioffset md0 md1 md2
    global_load_ubyte_d16 \dst \base \src \ioffset \md0 \md1 \md2
.endm

.macro _global_load_d16_hi_u8 dst base src ioffset md0 md1 md2
    global_load_ubyte_d16_hi \dst \base \src \ioffset \md0 \md1 \md2
.endm

.macro _global_load_u16 dst base src ioffset md0 md1 md2
    global_load_ushort \dst \base \src \ioffset \md0 \md1 \md2
.endm

.macro _global_store_b32 base src src2 md0 md1 md2
    global_store_dword \base \src \src2 \md0 \md1 \md2
.endm

.macro _global_store_b64 base src src2 md0 md1 md2
    global_store_dwordx2 \base \src \src2 \md0 \md1 \md2
.endm

.macro _global_store_b96 base src src2 md0 md1 md2
    global_store_dwordx3 \base \src \src2 \md0 \md1 \md2
.endm

.macro _global_store_b128 base src src2 md0 md1 md2
    global_store_dwordx4 \base \src \src2 \md0 \md1 \md2
.endm

.macro _global_store_d16_b16 base src src2 md0 md1 md2
    global_store_short \base \src \src2 \md0 \md1 \md2
.endm

.macro _global_store_d16_hi_b16 base src src2 md0 md1 md2
    global_store_short_d16_hi \base \src \src2 \md0 \md1 \md2
.endm

.macro _global_store_d16_u8 base src src2 md0 md1 md2
    global_store_ubyte_d16 \base \src \src2 \md0 \md1 \md2
.endm

.macro _global_store_d16_hi_u8 base src src2 md0 md1 md2
    global_store_ubyte_d16_hi \base \src \src2 \md0 \md1 \md2
.endm

.macro _global_store_u16 base src src2 md0 md1 md2
    global_store_ushort \base \src \src2 \md0 \md1 \md2
.endm

.macro _global_atomic_cmpswap_b32 tmp base data src ioffset md
    global_atomic_cmpswap \tmp \base \data \src \ioffset \md
.endm

.macro _global_atomic_cmpswap_b64 tmp base data src ioffset md
    global_atomic_cmpswap_x2 \tmp \base \data \src \ioffset \md
.endm


/******************************************/
/* Magic div and mod functions            */
/******************************************/
.macro V_MAGIC_DIV dstIdx:req, dividend:req, magicNumber:req, magicShift:req, magicA:req
    v_mul_hi_u32 v[\dstIdx+1], \dividend, \magicNumber
    v_mul_lo_u32 v[\dstIdx+0], \dividend, \magicA
    _v_add_u32 v[\dstIdx+0], v[\dstIdx+0], v[\dstIdx+1]
    v_lshrrev_b32 v[\dstIdx+0], \magicShift, v[\dstIdx+0]
.endm

/******************************************/
/* VGPR Assignments                       */
/******************************************/
/* ValuC range: [0-0), serializedStore enabled */
.set vgprValuC, 0
/* ValuA/B   Xn=PLR buffer idx,  In=InnerUnroll idx */
.set vgprValuA_X0_I0, 0
.set vgprValuA_X1_I0, 8
.set vgprValuA_X2_I0, 16
.set vgprValuA_X3_I0, 24
.set vgprG2LA, 66
.set vgprValuB_X0_I0, 32
.set vgprValuB_X1_I0, 36
.set vgprValuB_X2_I0, 40
.set vgprValuB_X3_I0, 44
.set vgprG2LB, 74
.set vgprLocalWriteAddrA, 48
.set vgprLocalWriteAddrB, 49
.set vgprGlobalReadAddrA, 50
.set vgprGlobalReadAddrB, 54
.set vgprGlobalReadIncsA, 62
.set vgprGlobalReadIncsB, 64
.set vgprLocalReadAddrA, 90
.set vgprLocalReadAddrB, 91
.set vgprSerial, 92
/* Num VGPR=192 */
/* Num AccVGPR=64 */

/******************************************/
/* SGPR Assignments                       */
/******************************************/
.set sgprKernArgAddress, 0 // (2)
.set sgprWorkGroup0, 2 // (1)
.set sgprWorkGroup1, 3 // (1)
.set sgprWorkGroup2, 4 // (1)
.set sgprLoopCounterL, 5 // (1)
.set sgprOrigLoopCounter, 6 // (1)
.set sgprTensor2dSizeA, 8 // (2)
.set sgprTensor2dSizeB, 10 // (2)
.set sgprAddressD, 12 // (2)
.set sgprAddressC, 14 // (2)
.set sgprAddressA, 16 // (2)
.set sgprAddressB, 18 // (2)
.set sgprAlpha, 20 // (2)
.set sgprBeta, 22 // (2)
.set sgprStridesD, 24 // (2)
.set sgprStridesC, 26 // (2)
.set sgprStridesA, 28 // (2)
.set sgprStridesB, 30 // (2)
.set sgprSizesFree, 32 // (3)
.set sgprSizesSum, 35 // (1)
.set sgprNumWorkGroups0, 36 // (1)
.set sgprNumWorkGroups1, 37 // (1)
.set sgprNumFullBlocks, 38 // (1)
.set sgprWgmRemainder1, 39 // (1)
.set sgprMagicNumberWgmRemainder1, 40 // (1)
/* max SGPR=46 */

/* Size Assignments */
.set sgprSizeI, sgprSizesFree+0
.set sgprSizeJ, sgprSizesFree+1
.set sgprSizeK, sgprSizesFree+2
.set sgprSizeL, sgprSizesSum+0

/* Stride Assignments */
.set constStrideD0I, 1
.set sgprStrideD1J, sgprStridesD+0
.set sgprStrideDK, sgprStridesD+1
.set constStrideC0I, 1
.set sgprStrideC1J, sgprStridesC+0
.set sgprStrideCK, sgprStridesC+1
.set constStrideAL, 1
.set sgprStrideA0I, sgprStridesA+0
.set sgprStrideAK, sgprStridesA+1
.set constStrideB1J, 1
.set sgprStrideBL, sgprStridesB+0
.set sgprStrideBK, sgprStridesB+1

.set MT0, 64
.set MT1, 128
.set DepthU, 16
.set GSU, 1
.set BpeA, 8
.set BpeALog2, 3
.set BpeB, 8
.set BpeBLog2, 3
/* Number of elements to shift-left SRD */
.set SrdShiftLeftA, 2
.set SrdShiftLeftB, 2

/* Global Offset D */
.macro GLOBAL_OFFSET_D vgprAddr:req vgprOffset0I:req vgprOffset1J:req sgprOffsetK:req vgprTmp:req
v_mul_lo_u32 v[\vgprTmp+0], s[sgprStrideD1J], v[\vgprOffset1J] // mul d1 lower
v_mul_hi_u32 v[\vgprTmp+1], s[sgprStrideD1J], v[\vgprOffset1J] // mul d1 upper
_v_add_co_u32 v[\vgprAddr+0], vcc, v[\vgprOffset0I], v[\vgprTmp+0] // accumulate K lower
_v_addc_co_u32 v[\vgprAddr+1], vcc, v[\vgprTmp+1], 0, vcc // accumulate K upper
v_mov_b32 v[\vgprTmp+2], s[\sgprOffsetK]           // sgprOffset -> vgprTmp+2
v_mul_lo_u32 v[\vgprTmp+0], s[sgprStrideDK], v[\vgprTmp+2] // other stride mul d2 lower
v_mul_hi_u32 v[\vgprTmp+1], s[sgprStrideDK], v[\vgprTmp+2] // mul d2 upper
_v_add_co_u32 v[\vgprAddr+0], vcc, v[\vgprAddr+0], v[\vgprTmp+0] // accumulate K lower
_v_addc_co_u32 v[\vgprAddr+1], vcc, v[\vgprTmp+1], v[\vgprAddr+1], vcc // accumulate K upper
v_lshlrev_b64 v[\vgprAddr+0:\vgprAddr+1], 0x3, v[\vgprAddr+0:\vgprAddr+1] // offset *= bytes/element
.endm

/* Global Offset C */
.macro GLOBAL_OFFSET_C vgprAddr:req vgprOffset0I:req vgprOffset1J:req sgprOffsetK:req vgprTmp:req
v_mul_lo_u32 v[\vgprTmp+0], s[sgprStrideC1J], v[\vgprOffset1J] // mul d1 lower
v_mul_hi_u32 v[\vgprTmp+1], s[sgprStrideC1J], v[\vgprOffset1J] // mul d1 upper
_v_add_co_u32 v[\vgprAddr+0], vcc, v[\vgprOffset0I], v[\vgprTmp+0] // accumulate K lower
_v_addc_co_u32 v[\vgprAddr+1], vcc, v[\vgprTmp+1], 0, vcc // accumulate K upper
v_mov_b32 v[\vgprTmp+2], s[\sgprOffsetK]           // sgprOffset -> vgprTmp+2
v_mul_lo_u32 v[\vgprTmp+0], s[sgprStrideCK], v[\vgprTmp+2] // other stride mul d2 lower
v_mul_hi_u32 v[\vgprTmp+1], s[sgprStrideCK], v[\vgprTmp+2] // mul d2 upper
_v_add_co_u32 v[\vgprAddr+0], vcc, v[\vgprAddr+0], v[\vgprTmp+0] // accumulate K lower
_v_addc_co_u32 v[\vgprAddr+1], vcc, v[\vgprTmp+1], v[\vgprAddr+1], vcc // accumulate K upper
v_lshlrev_b64 v[\vgprAddr+0:\vgprAddr+1], 0x3, v[\vgprAddr+0:\vgprAddr+1] // offset *= bytes/element
.endm

/* Global Offset A */
.macro GLOBAL_OFFSET_A vgprAddr:req vgprOffsetL:req vgprOffset0I:req sgprOffsetK:req vgprTmp:req
v_mul_lo_u32 v[\vgprTmp+0], s[sgprStrideA0I], v[\vgprOffset0I] // mul d1 lower
v_mul_hi_u32 v[\vgprTmp+1], s[sgprStrideA0I], v[\vgprOffset0I] // mul d1 upper
_v_add_co_u32 v[\vgprAddr+0], vcc, v[\vgprOffsetL], v[\vgprTmp+0] // accumulate K lower
_v_addc_co_u32 v[\vgprAddr+1], vcc, v[\vgprTmp+1], 0, vcc // accumulate K upper
v_mov_b32 v[\vgprTmp+2], s[\sgprOffsetK]           // sgprOffset -> vgprTmp+2
v_mul_lo_u32 v[\vgprTmp+0], s[sgprStrideAK], v[\vgprTmp+2] // other stride mul d2 lower
v_mul_hi_u32 v[\vgprTmp+1], s[sgprStrideAK], v[\vgprTmp+2] // mul d2 upper
_v_add_co_u32 v[\vgprAddr+0], vcc, v[\vgprAddr+0], v[\vgprTmp+0] // accumulate K lower
_v_addc_co_u32 v[\vgprAddr+1], vcc, v[\vgprTmp+1], v[\vgprAddr+1], vcc // accumulate K upper
v_lshlrev_b64 v[\vgprAddr+0:\vgprAddr+1], 0x3, v[\vgprAddr+0:\vgprAddr+1] // offset *= bytes/element
.endm

/* Global Offset B */
.macro GLOBAL_OFFSET_B vgprAddr:req vgprOffset1J:req vgprOffsetL:req sgprOffsetK:req vgprTmp:req
v_mul_lo_u32 v[\vgprTmp+0], s[sgprStrideBL], v[\vgprOffsetL] // mul d1 lower
v_mul_hi_u32 v[\vgprTmp+1], s[sgprStrideBL], v[\vgprOffsetL] // mul d1 upper
_v_add_co_u32 v[\vgprAddr+0], vcc, v[\vgprOffset1J], v[\vgprTmp+0] // accumulate K lower
_v_addc_co_u32 v[\vgprAddr+1], vcc, v[\vgprTmp+1], 0, vcc // accumulate K upper
v_mov_b32 v[\vgprTmp+2], s[\sgprOffsetK]           // sgprOffset -> vgprTmp+2
v_mul_lo_u32 v[\vgprTmp+0], s[sgprStrideBK], v[\vgprTmp+2] // other stride mul d2 lower
v_mul_hi_u32 v[\vgprTmp+1], s[sgprStrideBK], v[\vgprTmp+2] // mul d2 upper
_v_add_co_u32 v[\vgprAddr+0], vcc, v[\vgprAddr+0], v[\vgprTmp+0] // accumulate K lower
_v_addc_co_u32 v[\vgprAddr+1], vcc, v[\vgprTmp+1], v[\vgprAddr+1], vcc // accumulate K upper
v_lshlrev_b64 v[\vgprAddr+0:\vgprAddr+1], 0x3, v[\vgprAddr+0:\vgprAddr+1] // offset *= bytes/element
.endm

/******************************************/
/* Dynamic Scalar Divide: vQuotient=vDividend/vDivisor; vRemainder=vDividend%vDivisor; */
/******************************************/
.macro DYNAMIC_VECTOR_DIVIDE vQuotient vRemainder vDividend vDivisor vTmp0 vTmp1 sTmp
v_cvt_f32_u32 v[\vQuotient], v[\vDivisor]          // 
v_rcp_f32 v[\vQuotient], v[\vQuotient]             // 
v_mul_f32 v[\vQuotient], 0x4f800000, v[\vQuotient] // 
v_cvt_u32_f32 v[\vQuotient], v[\vQuotient]         // 
v_mul_lo_u32 v[\vRemainder], v[\vDivisor], v[\vQuotient] // 
v_mul_hi_u32 v[\vTmp0], v[\vDivisor], v[\vQuotient] // 
_v_sub_co_u32 v[\vTmp1], vcc, 0x0, v[\vRemainder]  // 
v_cmp_ne_i32 s[\sTmp:\sTmp+1], 0x0, v[\vTmp0]      // 
v_cndmask_b32 v[\vRemainder], v[\vTmp1], v[\vRemainder], s[\sTmp:\sTmp+1] // 
v_mul_hi_u32 v[\vRemainder], v[\vRemainder], v[\vQuotient] // 
_v_sub_co_u32 v[\vTmp0], vcc, v[\vQuotient], v[\vRemainder] // 
_v_add_co_u32 v[\vQuotient], vcc, v[\vQuotient], v[\vRemainder] // 
v_cndmask_b32 v[\vQuotient], v[\vQuotient], v[\vTmp0], s[\sTmp:\sTmp+1] // 
v_mul_hi_u32 v[\vQuotient], v[\vQuotient], v[\vDividend] // 
v_mul_lo_u32 v[\vRemainder], v[\vQuotient], v[\vDivisor] // 
_v_sub_co_u32 v[\vTmp0], vcc, v[\vDividend], v[\vRemainder] // 
v_cmp_ge_u32 s[\sTmp:\sTmp+1], v[\vDividend], v[\vRemainder] // 
_v_add_co_u32 v[\vRemainder], vcc, 0x1, v[\vQuotient] // 
_v_add_co_u32 v[\vTmp1], vcc, -1, v[\vQuotient]    // 
v_cmp_le_u32 vcc, v[\vDivisor], v[\vTmp0]          // 
s_and_b64 vcc, s[\sTmp:\sTmp+1], vcc               // 
v_cndmask_b32 v[\vQuotient], v[\vQuotient], v[\vRemainder], vcc // 
v_cndmask_b32 v[\vQuotient], v[\vTmp1], v[\vQuotient], s[\sTmp:\sTmp+1] // 
v_cmp_ne_i32 vcc, 0x0, v[\vDivisor]                // 
v_cndmask_b32 v[\vQuotient], -1, v[\vQuotient], vcc // final result
v_mul_lo_u32 v[\vRemainder], v[\vQuotient], v[\vDivisor] // 
_v_sub_co_u32 v[\vRemainder], vcc, v[\vDividend], v[\vRemainder] // final result
.endm


	;; [unrolled: 1-line block ×3, first 2 shown]
/******************************************/
/* Allocate Resources                     */
/******************************************/

Cijk_Alik_Bjlk_DB_MT64x128x16_MI16x16x4x1_SN_1LDSB1_APM1_AF0EM1_AF1EM1_AMAS0_ASE_ASGT_ASLT_ASM_ASAE01_ASCE01_ASEM1_BL0_BS0_CLR0_DTVA0_DTVB0_ETSP_EPS0_ELFLR0_EMLL0_FSSC10_FL0_GLVWA2_GLVWB2_GRCGA1_GRPM1_GRVW2_GSU1_GSUASB_GLS0_IU1_K1_LBSPPA0_LBSPPB0_LPA1_LPB0_LRVW1_LWPMn1_MIAV0_MKFGSU256_NTA0_NTB0_NTC3_NTD3_NEPBS1_NLCA1_NLCB1_ONLL1_PGR2_PLR5_PKA0_SIA3_SLW1_SS1_SU0_SUM0_SUS0_SPO1_SRVW0_SSO8_SVW1_TSGRA0_TSGRB0_TT4_32_TLDS0_UMLDSA0_UMLDSB0_USFGROn1_VAW1_VSn1_VW1_VWB1_VFLRP0_WSGRA0_WSGRB0_WG16_16_1_WGM18_preloaded: // Kernel start when preloading
s_setprio 3                                        // optimization store

/* Load Kernel Args */
_s_load_b512 s[8:23], s[sgprKernArgAddress:sgprKernArgAddress+1], 0x0 // 
_s_load_b512 s[24:39], s[sgprKernArgAddress:sgprKernArgAddress+1], 0x40 // 
_s_load_b32 s40, s[sgprKernArgAddress:sgprKernArgAddress+1], 0x80 // 
s_mov_b32 m0, 0x6100                               // LDS clamp at 24832 bytes
v_mov_b32 v[vgprSerial], v0                        // thread serial id

/******************************************/
/* Local Read Addresses                   */
/******************************************/


/* local read addresses: tile assignments a/b */

/*lr0I*/
v_and_b32 v1, 63, v[vgprSerial]                    // 0. thread id in wave: wtid = tid % wavelength(64)
v_and_b32 v0, 15, v1                               // 1. N offset: nIdx = wtid % MI_N(16)
                                                   // 1. N offset: nOffset = nIdx * nStride(1) (multiplier is 1, do nothing)
                                                   // 2. block offset: bnIdx = bnIdx % num1DBlocks(1) is 0. do nothing
                                                   // 4. apply VectorWidth: bnOffset = bnOffset * vw(1) (multiplier is 1, do nothing)
v_lshrrev_b32 v1, 4, v1                            // 5. K offset: kIdx = wtid / (MIN(16) * MIBB(1))
s_mov_b32 s7, 0x41                                 // 5. K offset: lrKOffset = kIdx * mStride(65)
v_mul_lo_u32 v1, s7, v1                            // 5. K offset: lrKOffset = kIdx * mStride(65)
_v_add_u32 v0, v1, v0                              // 6. offset in wave: lrOffset = bnOffset + lrKOffset
/*lr1J*/
v_and_b32 v2, 63, v[vgprSerial]                    // 0. thread id in wave: wtid = tid % wavelength(64)
v_and_b32 v1, 15, v2                               // 1. N offset: nIdx = wtid % MI_N(16)
                                                   // 1. N offset: nOffset = nIdx * nStride(1) (multiplier is 1, do nothing)
                                                   // 2. block offset: bnIdx = bnIdx % num1DBlocks(1) is 0. do nothing
                                                   // 4. apply VectorWidth: bnOffset = bnOffset * vw(1) (multiplier is 1, do nothing)
v_lshrrev_b32 v2, 4, v2                            // 5. K offset: kIdx = wtid / (MIN(16) * MIBB(1))
v_lshlrev_b32 v2, 0x7, v2                          // 5. K offset: lrKOffset = kIdx * mStride(128)
_v_add_u32 v1, v2, v1                              // 6. offset in wave: lrOffset = bnOffset + lrKOffset
v_lshrrev_b32 v3, 6, v[vgprSerial]                 // 7. wave offset in N dimen: wtid = tid / dividedForWaveId(64)
v_and_b32 v2, 3, v3                                // 7. wave offset in M dimen: wtid0 = wtid / num1DWaves(4)
v_lshlrev_b32 v2, 0x4, v2                          // 7. wave offset in M dimen: wOffset = wtid0 * W0Stride(16)
_v_add_u32 v1, v2, v1                              // 8. final local read offset: flrOffset = lrOffset + WOffset


/* local read addresses: final offsets a */

v_lshlrev_b32 v[vgprLocalReadAddrA], 0x3, v0       // Final Offset: offset = (lro0)*bpe


/* local read addresses: final offsets b */

v_lshlrev_b32 v[vgprLocalReadAddrB], 0x3, v1       // Final Offset: offset = (lro1)*bpe


/* local read addresses: declare addresses a */

/* N/A */


/* local read addresses: declare addresses b */

_v_add_co_u32 v[vgprLocalReadAddrB+0], vcc, 0x2100, v[vgprLocalReadAddrB+0] //  += LdsOffsetB (lower)
s_waitcnt lgkmcnt(0)                               // wait for 132 bytes of kern args


/* Short circuit condition if Alpha == 0, then sumDims=0 */
v_cmp_eq_f64 vcc, s[sgprAlpha:sgprAlpha+1], 0.0    // Alpha == 0.0 ?
s_cbranch_vccz label_AlphaNonZero                  // branch if Alpha != 0
s_mov_b32 s[sgprSizesSum+0], 0x0                   // Set summation dim=0 if Alpha == 0
label_AlphaNonZero:


	;; [unrolled: 1-line block ×3, first 2 shown]
/******************************************/
/* Begin setupNewTile, isPap=False           */
/******************************************/


/* global read addresses: work-group */

/* graWorkGroup mapping */
s_mov_b32 s45, 0x71c71c8L                          // magic number for WGM==18
s_mul_hi_u32 s43, s[sgprWorkGroup1], s45           // s_magic mul
s_mul_i32 s42, s[sgprWorkGroup1], s45              // s_magic mul
s_lshr_b64 s[42:43], s[42:43], 31                  // sMagicDiv
s_mul_i32 s43, s42, 18                             // quotient * non-magic divisor
s_sub_u32 s43, s[sgprWorkGroup1], s43              // WorkGroup1=remainder
s_mul_i32 s43, s43, s[sgprNumWorkGroups0]          // (wg1 % WGM)*nwg0
s_add_u32 s43, s43, s[sgprWorkGroup0]              // wgSerial = wg0 + (wg1 % WGM)*nwg1
s_cmp_ge_u32 s42, s[sgprNumFullBlocks]             // blockId >= numFullBlocks ?
s_cmov_b32 s45, s[sgprMagicNumberWgmRemainder1]    // 
s_cselect_b32 s44, s[sgprWgmRemainder1], 18        // 
s_mul_hi_u32 s3, s43, s45                          // s_magic mul
s_mul_i32 s2, s43, s45                             // s_magic mul
s_lshr_b64 s[2:3], s[2:3], 31                      // sMagicDiv
s_mul_i32 s[sgprWorkGroup1], s[sgprWorkGroup0], s44 // quotient * non-magic divisor
s_sub_u32 s[sgprWorkGroup1], s43, s[sgprWorkGroup1] // WorkGroup1=remainder
s_mul_i32 s42, s42, 18                             // blockId * WGM
s_add_u32 s[sgprWorkGroup1], s[sgprWorkGroup1], s42 // wg1 += blockId * WGM


/* global read addresses: tile offset assignment a */

/* LVCA = 8 */
/* v2 = groA-tile = serial/LVCA + (wgA*MTA) */
/* v1 = groA-unroll = serial%LVCA */
v_lshrrev_b32 v0, 3, v[vgprSerial]                 // v0 = v[vgprSerial] / 8
v_and_b32 v1, 7, v[vgprSerial]                     // v1 = v[vgprSerial] % 8
/* gro-unroll *= glvw */
v_lshlrev_b32 v1, 0x1, v1                          // v1 = v1 * 2
v_lshlrev_b32 v3, 0x6, s[sgprWorkGroup0]           // v3 = s[sgprWorkGroup0] * 64
_v_add_co_u32 v2, vcc, v3, v0                      // groA-tile = serial/LVCA*VW + (wgA*MTA)


/* global read addresses: tile offset assignment b */

/* LVCB = 64 */
/* v5 = groB-tile = serial%LVCB + (wgB*MTB) */
/* v4 = groB-unroll = serial/LVCB */
v_lshrrev_b32 v4, 6, v[vgprSerial]                 // v4 = v[vgprSerial] / 64
v_and_b32 v3, 63, v[vgprSerial]                    // v3 = v[vgprSerial] % 64
/* gro-tile *= glvw */
v_lshlrev_b32 v3, 0x1, v3                          // v3 = v3 * 2
v_lshlrev_b32 v6, 0x7, s[sgprWorkGroup1]           // v6 = s[sgprWorkGroup1] * 128
_v_add_co_u32 v5, vcc, v6, v3                      // groB-tile = serial%LVCB*VW + (wgB*MTB)


/* global read addresses: unroll assignment a */

/* v1 */


/* global read addresses: unroll assignment b */

/* v4 */


/* global read addresses: other free assignments */

/* s[sgprWorkGroup2] */


/* global read addresses: tile offsets a */

v_mov_b32 v6, v2                                   // groA0I_0
_v_add_co_u32 v7, vcc, 32, v6                      // groA0I_1 += LSPA


/* global read addresses: tile offsets b */

v_mov_b32 v2, v5                                   // groB1J_0


/* global read addresses: unroll offsets a */

v_mov_b32 v5, v1                                   // groAL_0


/* global read addresses: unroll offsets b */

v_mov_b32 v8, v4                                   // groBL_0
_v_add_co_u32 v9, vcc, 4, v8                       // groBL_1 + LSPB
_v_add_co_u32 v10, vcc, 4, v9                      // groBL_2 + LSPB
_v_add_co_u32 v11, vcc, 4, v10                     // groBL_3 + LSPB


/* global read addresses: shift a */

s_sub_u32 s0, s[sgprSizeI], 1                      // edge = Size0I-1
v_mov_b32 v12, s0                                  // edge vgpr = Size0I-1
v_cmp_lt_u32 s[0:1], v6, v12                       // shiftedOffset < shiftedEdge
v_cndmask_b32 v6, v12, v6, s[0:1]                  // offset = (offset < edge) ? offset(v6) : edge(v12)
v_cmp_lt_u32 s[0:1], v7, v12                       // shiftedOffset < shiftedEdge
v_cndmask_b32 v7, v12, v7, s[0:1]                  // offset = (offset < edge) ? offset(v7) : edge(v12)


/* global read addresses: shift b */

s_sub_u32 s0, s[sgprSizeJ], 2                      // edge = Size1J-2
v_mov_b32 v12, s0                                  // edge vgpr = Size1J-2
v_cmp_lt_u32 s[0:1], v2, v12                       // shiftedOffset < shiftedEdge
v_cndmask_b32 v2, v12, v2, s[0:1]                  // offset = (offset < edge) ? offset(v2) : edge(v12)


/* global read addresses: final offsets a */

GLOBAL_OFFSET_A vgprGlobalReadAddrA+0,  5,  6, sgprWorkGroup2, 12 // gROA_0_0_0_0
GLOBAL_OFFSET_A vgprGlobalReadAddrA+2,  5,  7, sgprWorkGroup2, 12 // gROA_0_0_1_0


/* global read addresses: final offsets b */

GLOBAL_OFFSET_B vgprGlobalReadAddrB+0,  2,  8, sgprWorkGroup2, 5 // gROB_0_0_0_0
GLOBAL_OFFSET_B vgprGlobalReadAddrB+2,  2,  9, sgprWorkGroup2, 5 // gROB_0_0_1_0
GLOBAL_OFFSET_B vgprGlobalReadAddrB+4,  2, 10, sgprWorkGroup2, 5 // gROB_0_0_2_0
GLOBAL_OFFSET_B vgprGlobalReadAddrB+6,  2, 11, sgprWorkGroup2, 5 // gROB_0_0_3_0


/* global read addresses: addresses a */

v_mov_b32 v5, s[sgprAddressA+0]                    // 
v_mov_b32 v6, s[sgprAddressA+1]                    // 
_v_add_co_u32 v[vgprGlobalReadAddrA+0+0], vcc, v[vgprGlobalReadAddrA+0+0], v5 // gRAA_0_0_0_0 = addrA+grOA_0_0_0_0 (lower)
_v_addc_co_u32 v[vgprGlobalReadAddrA+0+1], vcc, v[vgprGlobalReadAddrA+0+1], v6, vcc // gRAA_0_0_0_0 = addrA+grOA_0_0_0_0 (upper)
_v_add_co_u32 v[vgprGlobalReadAddrA+2+0], vcc, v[vgprGlobalReadAddrA+2+0], v5 // gRAA_0_0_1_0 = addrA+grOA_0_0_1_0 (lower)
_v_addc_co_u32 v[vgprGlobalReadAddrA+2+1], vcc, v[vgprGlobalReadAddrA+2+1], v6, vcc // gRAA_0_0_1_0 = addrA+grOA_0_0_1_0 (upper)


/* global read addresses: addresses b */

v_mov_b32 v5, s[sgprAddressB+0]                    // 
v_mov_b32 v6, s[sgprAddressB+1]                    // 
_v_add_co_u32 v[vgprGlobalReadAddrB+0+0], vcc, v[vgprGlobalReadAddrB+0+0], v5 // gRAB_0_0_0_0 = addrB+grOB_0_0_0_0 (lower)
_v_addc_co_u32 v[vgprGlobalReadAddrB+0+1], vcc, v[vgprGlobalReadAddrB+0+1], v6, vcc // gRAB_0_0_0_0 = addrB+grOB_0_0_0_0 (upper)
_v_add_co_u32 v[vgprGlobalReadAddrB+2+0], vcc, v[vgprGlobalReadAddrB+2+0], v5 // gRAB_0_0_1_0 = addrB+grOB_0_0_1_0 (lower)
_v_addc_co_u32 v[vgprGlobalReadAddrB+2+1], vcc, v[vgprGlobalReadAddrB+2+1], v6, vcc // gRAB_0_0_1_0 = addrB+grOB_0_0_1_0 (upper)
_v_add_co_u32 v[vgprGlobalReadAddrB+4+0], vcc, v[vgprGlobalReadAddrB+4+0], v5 // gRAB_0_0_2_0 = addrB+grOB_0_0_2_0 (lower)
_v_addc_co_u32 v[vgprGlobalReadAddrB+4+1], vcc, v[vgprGlobalReadAddrB+4+1], v6, vcc // gRAB_0_0_2_0 = addrB+grOB_0_0_2_0 (upper)
_v_add_co_u32 v[vgprGlobalReadAddrB+6+0], vcc, v[vgprGlobalReadAddrB+6+0], v5 // gRAB_0_0_3_0 = addrB+grOB_0_0_3_0 (lower)
_v_addc_co_u32 v[vgprGlobalReadAddrB+6+1], vcc, v[vgprGlobalReadAddrB+6+1], v6, vcc // gRAB_0_0_3_0 = addrB+grOB_0_0_3_0 (upper)


/* global read addresses: increments a */

s_mul_i32 s0, DepthU*8, constStrideAL              // incrAL = constStrideAL*DepthU*bpe (unrollIdx)
s_mov_b32 s1, 0x0                                  // (carry)
v_mov_b32 v[vgprGlobalReadIncsA+0+0], s0           // 
v_mov_b32 v[vgprGlobalReadIncsA+0+1], s1           // 


/* global read addresses: increments b */

s_mul_i32 s0, DepthU*8, s[sgprStrideBL]            // incrBL = s[sgprStrideBL]*DepthU*bpe (unrollIdx)
s_mov_b32 s1, 0x0                                  // (carry)
v_mov_b32 v[vgprGlobalReadIncsB+0+0], s0           // 
v_mov_b32 v[vgprGlobalReadIncsB+0+1], s1           // 


/******************************************/
/* Local Write Addresses                  */
/******************************************/

/* lwaTileAssignmentA = v0 */

/* lwaTileAssignmentB = v3 */

/* lwaUnrollAssignmentA = v1 */

/* lwaUnrollAssignmentB = v4 */


/* local write addresses: first offset a */

v_mul_u32_u24 v[vgprLocalWriteAddrA], 0x41, v1     // lwAL**(MTA + PAD)
_v_add_lshl_u32 v[vgprLocalWriteAddrA], v0, v[vgprLocalWriteAddrA], 0x3 // lwFOA = (lwAA + lwAL*(MT0I+PAD))*bpe


/* local write addresses: first offset b */

v_mul_u32_u24 v[vgprLocalWriteAddrB], 0x80, v4     // lwBL**(MTB + PAD)
_v_add_lshl_u32 v[vgprLocalWriteAddrB], v3, v[vgprLocalWriteAddrB], 0x3 // lwFOB = (lwBB + lwBL*(MT1J+PAD))*bpe
_v_add_co_u32 v[vgprLocalWriteAddrB], vcc, 0x2100, v[vgprLocalWriteAddrB] // lwFOB = lwB1J + lwBL*MT1J + LDS_OFFSET_B=1056*8


	;; [unrolled: 1-line block ×7, first 2 shown]
/* declare loop num iterations */


s_lshr_b32 s[sgprLoopCounterL], s[sgprSizesSum+0], 4 // s[sgprLoopCounterL] = s[sgprSizesSum+0] / 16
s_mov_b32 s[sgprOrigLoopCounter], s[sgprLoopCounterL] // copy loop counter

/* local read addresses: init pointers a */


/* localReadInitPointers */

/* local read addresses: init pointers b */


/* localReadInitPointers */


/* prefetch: global -> local */

s_cmp_eq_u32 s[sgprLoopCounterL], 0                // at last iteration?
s_setprio 0                                        // optimization store
s_cbranch_scc1 ShadowInitStart_10                  // skip to ShadowInitStart iter b/c numIter==0


_global_load_b128 v[vgprG2LA+0:vgprG2LA+0+3], v[vgprGlobalReadAddrA+0:vgprGlobalReadAddrA+0+1], off, offset:0 // G -> Reg 0_0_0_0
_global_load_b128 v[vgprG2LA+4:vgprG2LA+4+3], v[vgprGlobalReadAddrA+2:vgprGlobalReadAddrA+2+1], off, offset:0 // G -> Reg 0_0_1_0


_global_load_b128 v[vgprG2LB+0:vgprG2LB+0+3], v[vgprGlobalReadAddrB+0:vgprGlobalReadAddrB+0+1], off, offset:0 // G -> Reg 0_0_0_0
_global_load_b128 v[vgprG2LB+4:vgprG2LB+4+3], v[vgprGlobalReadAddrB+2:vgprGlobalReadAddrB+2+1], off, offset:0 // G -> Reg 0_0_1_0
_global_load_b128 v[vgprG2LB+8:vgprG2LB+8+3], v[vgprGlobalReadAddrB+4:vgprGlobalReadAddrB+4+1], off, offset:0 // G -> Reg 0_0_2_0
_global_load_b128 v[vgprG2LB+12:vgprG2LB+12+3], v[vgprGlobalReadAddrB+6:vgprGlobalReadAddrB+6+1], off, offset:0 // G -> Reg 0_0_3_0


/* global read inc A loopL */
_v_add_co_u32  v[vgprGlobalReadAddrA+0+0], vcc, v[vgprGlobalReadAddrA+0+0], v[vgprGlobalReadIncsA+0+0] // gra += incAL (lower)
_v_addc_co_u32 v[vgprGlobalReadAddrA+0+1], vcc, v[vgprGlobalReadAddrA+0+1], v[vgprGlobalReadIncsA+0+1], vcc // gra += incAL (upper)
_v_add_co_u32  v[vgprGlobalReadAddrA+2+0], vcc, v[vgprGlobalReadAddrA+2+0], v[vgprGlobalReadIncsA+0+0] // gra += incAL (lower)
_v_addc_co_u32 v[vgprGlobalReadAddrA+2+1], vcc, v[vgprGlobalReadAddrA+2+1], v[vgprGlobalReadIncsA+0+1], vcc // gra += incAL (upper)

/* global read inc B loopL */
_v_add_co_u32  v[vgprGlobalReadAddrB+0+0], vcc, v[vgprGlobalReadAddrB+0+0], v[vgprGlobalReadIncsB+0+0] // gra += incBL (lower)
_v_addc_co_u32 v[vgprGlobalReadAddrB+0+1], vcc, v[vgprGlobalReadAddrB+0+1], v[vgprGlobalReadIncsB+0+1], vcc // gra += incBL (upper)
_v_add_co_u32  v[vgprGlobalReadAddrB+2+0], vcc, v[vgprGlobalReadAddrB+2+0], v[vgprGlobalReadIncsB+0+0] // gra += incBL (lower)
_v_addc_co_u32 v[vgprGlobalReadAddrB+2+1], vcc, v[vgprGlobalReadAddrB+2+1], v[vgprGlobalReadIncsB+0+1], vcc // gra += incBL (upper)
	;; [unrolled: 2-line block ×4, first 2 shown]


/******************************************/
/* End setupNewTile, isPap=False             */
/******************************************/

ShadowInitStart_10: // 


	;; [unrolled: 1-line block ×3, first 2 shown]
/* initC: remove C-tile 0-0 from pool */

/* initC: remove AB-tile 0-48 from pool */
v_mov_b32 v93, 15728640                            // set out-of-bound addr
_ds_load_b64 acc[0:1], v93, offset:0               // initC
_ds_load_b64 acc[2:3], v93, offset:0               // initC
	;; [unrolled: 1-line block ×5, first 2 shown]
_ds_load_b64 acc[10:11], v93, offset:0             // initC
_ds_load_b64 acc[12:13], v93, offset:0             // initC
	;; [unrolled: 1-line block ×27, first 2 shown]

s_cmp_eq_u32 s[sgprLoopCounterL], 0                // at last iteration?

/* after InitC, skip to end of prefetch last iter if numIter==0 */
s_cbranch_scc0 label_NoBranch_11                   // Only branch on scc1
s_getpc_B64 s[42:43]                               // addr of next instr
s_add_i32 s44, PrefetchGlobalLastIterEnd_5, 0x4    // target branch offset
s_add_u32 s42, s42, s44                            // add target branch offset
s_addc_u32 s43, s43, 0                             // add high and carry
s_setpc_b64 s[42:43]                               // branch to PrefetchGlobalLastIterEnd_5
label_NoBranch_11:

s_waitcnt vmcnt(0)                                 // lgkmcnt=-1 vmcnt=0 8wait for global read


/* local write a */
_ds_store_b64 v[vgprLocalWriteAddrA], v[vgprG2LA+0:vgprG2LA+0+1] offset:0 // lwoA_0_0_0_0 = (0 + 0*LSCA)*(MT0I+PAD) + (0*LSPA) = 0
_ds_store_b64 v[vgprLocalWriteAddrA], v[vgprG2LA+2:vgprG2LA+2+1] offset:520 // lwoA_0_1_0_0 = (1 + 0*LSCA)*(MT0I+PAD) + (0*LSPA) = 520
_ds_store_b64 v[vgprLocalWriteAddrA], v[vgprG2LA+4:vgprG2LA+4+1] offset:256 // lwoA_0_0_1_0 = (0 + 0*LSCA)*(MT0I+PAD) + (1*LSPA) = 256
_ds_store_b64 v[vgprLocalWriteAddrA], v[vgprG2LA+6:vgprG2LA+6+1] offset:776 // lwoA_0_1_1_0 = (1 + 0*LSCA)*(MT0I+PAD) + (1*LSPA) = 776

/* local write b */
_ds_store_b128 v[vgprLocalWriteAddrB], v[vgprG2LB+0:vgprG2LB+0+3] offset:0 // lwoB_0_0_0_0 = (0*LSCB) + (0*LSPB)(*MT1J+PAD) = 0
_ds_store_b128 v[vgprLocalWriteAddrB], v[vgprG2LB+4:vgprG2LB+4+3] offset:4096 // lwoB_0_0_1_0 = (0*LSCB) + (1*LSPB)(*MT1J+PAD) = 4096
_ds_store_b128 v[vgprLocalWriteAddrB], v[vgprG2LB+8:vgprG2LB+8+3] offset:8192 // lwoB_0_0_2_0 = (0*LSCB) + (2*LSPB)(*MT1J+PAD) = 8192
_ds_store_b128 v[vgprLocalWriteAddrB], v[vgprG2LB+12:vgprG2LB+12+3] offset:12288 // lwoB_0_0_3_0 = (0*LSCB) + (3*LSPB)(*MT1J+PAD) = 12288


/* local write swap a */


	;; [unrolled: 1-line block ×3, first 2 shown]
/* local write swap b */




s_cmp_eq_u32 s[sgprLoopCounterL] 0x1               // PGR=2 but only 1 loop
s_cbranch_scc1 label_0012                          // PGR=2 but only 1 loop


_global_load_b128 v[vgprG2LA+0:vgprG2LA+0+3], v[vgprGlobalReadAddrA+0:vgprGlobalReadAddrA+0+1], off, offset:0 // G -> Reg 0_0_0_0
_global_load_b128 v[vgprG2LA+4:vgprG2LA+4+3], v[vgprGlobalReadAddrA+2:vgprGlobalReadAddrA+2+1], off, offset:0 // G -> Reg 0_0_1_0


_global_load_b128 v[vgprG2LB+0:vgprG2LB+0+3], v[vgprGlobalReadAddrB+0:vgprGlobalReadAddrB+0+1], off, offset:0 // G -> Reg 0_0_0_0
_global_load_b128 v[vgprG2LB+4:vgprG2LB+4+3], v[vgprGlobalReadAddrB+2:vgprGlobalReadAddrB+2+1], off, offset:0 // G -> Reg 0_0_1_0
_global_load_b128 v[vgprG2LB+8:vgprG2LB+8+3], v[vgprGlobalReadAddrB+4:vgprGlobalReadAddrB+4+1], off, offset:0 // G -> Reg 0_0_2_0
_global_load_b128 v[vgprG2LB+12:vgprG2LB+12+3], v[vgprGlobalReadAddrB+6:vgprGlobalReadAddrB+6+1], off, offset:0 // G -> Reg 0_0_3_0

label_0012:                                        // 

s_waitcnt lgkmcnt(0)                               // lgkmcnt=0 vmcnt=-10prefetch wait for local write

// Skip force waitcnt0
s_barrier //


/* local read prefetch a */

_ds_load_b64 v[vgprValuA_X0_I0+0:vgprValuA_X0_I0+0+1], v[vgprLocalReadAddrA] offset:0 // L -> Reg lro=0 swapByteOffset=0 ti=16 vIdx=0 rIdx=0 oIdx=0 buffer=0 iui=0
_ds_load_b64 v[vgprValuA_X0_I0+2:vgprValuA_X0_I0+2+1], v[vgprLocalReadAddrA] offset:128 // L -> Reg lro=0 swapByteOffset=0 ti=16 vIdx=1 rIdx=0 oIdx=0 buffer=0 iui=0
	;; [unrolled: 1-line block ×4, first 2 shown]


/* local read prefetch b */

_ds_load_b64 v[vgprValuB_X0_I0+0:vgprValuB_X0_I0+0+1], v[vgprLocalReadAddrB] offset:0 // L -> Reg lro=0 swapByteOffset=0 ti=64 vIdx=0 rIdx=0 oIdx=0 buffer=0 iui=0
_ds_load_b64 v[vgprValuB_X0_I0+2:vgprValuB_X0_I0+2+1], v[vgprLocalReadAddrB] offset:512 // L -> Reg lro=0 swapByteOffset=0 ti=64 vIdx=1 rIdx=0 oIdx=0 buffer=0 iui=0


/* local read inc a */

/* N/A, lro->260 */
/* self.localReadDoCntA 1 self.localReadDoCntB 1 */


/* local read inc b */

/* N/A, lro->512 */
/* self.localReadDoCntA 1 self.localReadDoCntB 1 */


	;; [unrolled: 1-line block ×3, first 2 shown]
/******************************************/
/* Unrolled Loop(s) - Begin               */
/******************************************/

openLoopL_13:
s_cmp_eq_u32 s[sgprLoopCounterL], 0x1              // LoopCounterL < EndCounter
s_cbranch_scc1 label_0014                          // PGR=2 but only 1 loop, toPGR1
s_cmp_le_u32 s[sgprLoopCounterL], 0x2              // LoopCounterL < EndCounter
s_cbranch_scc1 LoopEndL_2                          // do not enter LoopL
LoopBeginL_1:


/******************************************/
/* Unrolled Loop 1/1 - Begin              */
/******************************************/

label_0015: // LoopCopy1 


/* Begin Each Unroll: Check VGPR.checkin for INT8 LW */


	;; [unrolled: 1-line block ×3, first 2 shown]
/* iter 0 */

/*  grEndMfmaIndex:4, lwStartMfmaIndex:13, lwEndMfmaIndex:24  */
/*  numMfmaForLR:5, barrierMfmaIndex:26, LocalWritePerMfma:0.500 */
/*  mfmaIndex:0  */
s_waitcnt lgkmcnt(0)                               // lgkmcnt=0 vmcnt=-1wait for prior local read local write old=0, new=0 newLW=0 newLR=0
v_mfma_f64_16x16x4_f64 a[0+0:7+0], v[vgprValuB_X0_I0+0+0+0:vgprValuB_X0_I0+0+0+0+1], v[vgprValuA_X0_I0+0+0+0:vgprValuA_X0_I0+0+0+0+1], a[0:7]
/*  mfmaIndex:1  */
_ds_load_b64 v[vgprValuA_X1_I0+0:vgprValuA_X1_I0+0+1], v[vgprLocalReadAddrA] offset:2080 // L -> Reg lro=260 swapByteOffset=0 ti=16 vIdx=0 rIdx=0 oIdx=0 buffer=1 iui=0
_ds_load_b64 v[vgprValuB_X1_I0+0:vgprValuB_X1_I0+0+1], v[vgprLocalReadAddrB] offset:4096 // L -> Reg lro=512 swapByteOffset=0 ti=64 vIdx=0 rIdx=0 oIdx=0 buffer=1 iui=0

/* global read inc A loopL */
_v_add_co_u32  v[vgprGlobalReadAddrA+0+0], vcc, v[vgprGlobalReadAddrA+0+0], v[vgprGlobalReadIncsA+0+0] // gra += incAL (lower)
_v_addc_co_u32 v[vgprGlobalReadAddrA+0+1], vcc, v[vgprGlobalReadAddrA+0+1], v[vgprGlobalReadIncsA+0+1], vcc // gra += incAL (upper)
_v_add_co_u32  v[vgprGlobalReadAddrA+2+0], vcc, v[vgprGlobalReadAddrA+2+0], v[vgprGlobalReadIncsA+0+0] // gra += incAL (lower)
v_mfma_f64_16x16x4_f64 a[8+0:15+0], v[vgprValuB_X0_I0+0+0+0:vgprValuB_X0_I0+0+0+0+1], v[vgprValuA_X0_I0+2+0+0:vgprValuA_X0_I0+2+0+0+1], a[8:15]
/*  mfmaIndex:2  */
_ds_load_b64 v[vgprValuA_X1_I0+2:vgprValuA_X1_I0+2+1], v[vgprLocalReadAddrA] offset:2208 // L -> Reg lro=260 swapByteOffset=0 ti=16 vIdx=1 rIdx=0 oIdx=0 buffer=1 iui=0
_ds_load_b64 v[vgprValuA_X1_I0+4:vgprValuA_X1_I0+4+1], v[vgprLocalReadAddrA] offset:2336 // L -> Reg lro=260 swapByteOffset=0 ti=16 vIdx=2 rIdx=0 oIdx=0 buffer=1 iui=0
_v_addc_co_u32 v[vgprGlobalReadAddrA+2+1], vcc, v[vgprGlobalReadAddrA+2+1], v[vgprGlobalReadIncsA+0+1], vcc // gra += incAL (upper)

/* global read inc B loopL */
_v_add_co_u32  v[vgprGlobalReadAddrB+0+0], vcc, v[vgprGlobalReadAddrB+0+0], v[vgprGlobalReadIncsB+0+0] // gra += incBL (lower)
_v_addc_co_u32 v[vgprGlobalReadAddrB+0+1], vcc, v[vgprGlobalReadAddrB+0+1], v[vgprGlobalReadIncsB+0+1], vcc // gra += incBL (upper)
v_mfma_f64_16x16x4_f64 a[16+0:23+0], v[vgprValuB_X0_I0+0+0+0:vgprValuB_X0_I0+0+0+0+1], v[vgprValuA_X0_I0+4+0+0:vgprValuA_X0_I0+4+0+0+1], a[16:23]
/*  mfmaIndex:3  */
_ds_load_b64 v[vgprValuA_X1_I0+6:vgprValuA_X1_I0+6+1], v[vgprLocalReadAddrA] offset:2464 // L -> Reg lro=260 swapByteOffset=0 ti=16 vIdx=3 rIdx=0 oIdx=0 buffer=1 iui=0
_ds_load_b64 v[vgprValuB_X1_I0+2:vgprValuB_X1_I0+2+1], v[vgprLocalReadAddrB] offset:4608 // L -> Reg lro=512 swapByteOffset=0 ti=64 vIdx=1 rIdx=0 oIdx=0 buffer=1 iui=0
/* localReadsVacancy: latencyLeft 1 */
_v_add_co_u32  v[vgprGlobalReadAddrB+2+0], vcc, v[vgprGlobalReadAddrB+2+0], v[vgprGlobalReadIncsB+0+0] // gra += incBL (lower)
_v_addc_co_u32 v[vgprGlobalReadAddrB+2+1], vcc, v[vgprGlobalReadAddrB+2+1], v[vgprGlobalReadIncsB+0+1], vcc // gra += incBL (upper)
_v_add_co_u32  v[vgprGlobalReadAddrB+4+0], vcc, v[vgprGlobalReadAddrB+4+0], v[vgprGlobalReadIncsB+0+0] // gra += incBL (lower)
v_mfma_f64_16x16x4_f64 a[24+0:31+0], v[vgprValuB_X0_I0+0+0+0:vgprValuB_X0_I0+0+0+0+1], v[vgprValuA_X0_I0+6+0+0:vgprValuA_X0_I0+6+0+0+1], a[24:31]
/*  mfmaIndex:4  */
/* localReadsVacancy: latencyLeft 5 */
_ds_load_b64 v[vgprValuA_X2_I0+0:vgprValuA_X2_I0+0+1], v[vgprLocalReadAddrA] offset:4160 // L -> Reg lro=520 swapByteOffset=0 ti=16 vIdx=0 rIdx=0 oIdx=0 buffer=2 iui=0
_ds_load_b64 v[vgprValuB_X2_I0+0:vgprValuB_X2_I0+0+1], v[vgprLocalReadAddrB] offset:8192 // L -> Reg lro=1024 swapByteOffset=0 ti=64 vIdx=0 rIdx=0 oIdx=0 buffer=2 iui=0
_v_addc_co_u32 v[vgprGlobalReadAddrB+4+1], vcc, v[vgprGlobalReadAddrB+4+1], v[vgprGlobalReadIncsB+0+1], vcc // gra += incBL (upper)
_v_add_co_u32  v[vgprGlobalReadAddrB+6+0], vcc, v[vgprGlobalReadAddrB+6+0], v[vgprGlobalReadIncsB+0+0] // gra += incBL (lower)
_v_addc_co_u32 v[vgprGlobalReadAddrB+6+1], vcc, v[vgprGlobalReadAddrB+6+1], v[vgprGlobalReadIncsB+0+1], vcc // gra += incBL (upper)
v_mfma_f64_16x16x4_f64 a[56+0:63+0], v[vgprValuB_X0_I0+2+0+0:vgprValuB_X0_I0+2+0+0+1], v[vgprValuA_X0_I0+6+0+0:vgprValuA_X0_I0+6+0+0+1], a[56:63]
/*  mfmaIndex:5  */
/* localReadsVacancy: latencyLeft 5 */
_ds_load_b64 v[vgprValuA_X2_I0+2:vgprValuA_X2_I0+2+1], v[vgprLocalReadAddrA] offset:4288 // L -> Reg lro=520 swapByteOffset=0 ti=16 vIdx=1 rIdx=0 oIdx=0 buffer=2 iui=0
_ds_load_b64 v[vgprValuA_X2_I0+4:vgprValuA_X2_I0+4+1], v[vgprLocalReadAddrA] offset:4416 // L -> Reg lro=520 swapByteOffset=0 ti=16 vIdx=2 rIdx=0 oIdx=0 buffer=2 iui=0
v_mfma_f64_16x16x4_f64 a[48+0:55+0], v[vgprValuB_X0_I0+2+0+0:vgprValuB_X0_I0+2+0+0+1], v[vgprValuA_X0_I0+4+0+0:vgprValuA_X0_I0+4+0+0+1], a[48:55]
/*  mfmaIndex:6  */
/* localReadsVacancy: latencyLeft 5 */
_ds_load_b64 v[vgprValuA_X2_I0+6:vgprValuA_X2_I0+6+1], v[vgprLocalReadAddrA] offset:4544 // L -> Reg lro=520 swapByteOffset=0 ti=16 vIdx=3 rIdx=0 oIdx=0 buffer=2 iui=0
_ds_load_b64 v[vgprValuB_X2_I0+2:vgprValuB_X2_I0+2+1], v[vgprLocalReadAddrB] offset:8704 // L -> Reg lro=1024 swapByteOffset=0 ti=64 vIdx=1 rIdx=0 oIdx=0 buffer=2 iui=0
v_mfma_f64_16x16x4_f64 a[40+0:47+0], v[vgprValuB_X0_I0+2+0+0:vgprValuB_X0_I0+2+0+0+1], v[vgprValuA_X0_I0+2+0+0:vgprValuA_X0_I0+2+0+0+1], a[40:47]
/*  mfmaIndex:7  */
/* localReadsVacancy: latencyLeft 5 */
_ds_load_b64 v[vgprValuA_X3_I0+0:vgprValuA_X3_I0+0+1], v[vgprLocalReadAddrA] offset:6240 // L -> Reg lro=780 swapByteOffset=0 ti=16 vIdx=0 rIdx=0 oIdx=0 buffer=3 iui=0
_ds_load_b64 v[vgprValuB_X3_I0+0:vgprValuB_X3_I0+0+1], v[vgprLocalReadAddrB] offset:12288 // L -> Reg lro=1536 swapByteOffset=0 ti=64 vIdx=0 rIdx=0 oIdx=0 buffer=3 iui=0
v_mfma_f64_16x16x4_f64 a[32+0:39+0], v[vgprValuB_X0_I0+2+0+0:vgprValuB_X0_I0+2+0+0+1], v[vgprValuA_X0_I0+0+0+0:vgprValuA_X0_I0+0+0+0+1], a[32:39]
/* numPrefetchIter=0 */
/* dataAtIterA=-1 numReadsIterA=1 skipReadsIterA=1 readsPerIterA=4 */
/* dataAtIterB=-1 numReadsIterB=1 skipReadsIterB=1 readsPerIterB=2 */


/* iter 1 */

/*  grEndMfmaIndex:4, lwStartMfmaIndex:13, lwEndMfmaIndex:24  */
/*  numMfmaForLR:5, barrierMfmaIndex:26, LocalWritePerMfma:0.500 */
/*  mfmaIndex:8  */
/* localReadsVacancy: latencyLeft 5 */
_ds_load_b64 v[vgprValuA_X3_I0+2:vgprValuA_X3_I0+2+1], v[vgprLocalReadAddrA] offset:6368 // L -> Reg lro=780 swapByteOffset=0 ti=16 vIdx=1 rIdx=0 oIdx=0 buffer=3 iui=0
_ds_load_b64 v[vgprValuA_X3_I0+4:vgprValuA_X3_I0+4+1], v[vgprLocalReadAddrA] offset:6496 // L -> Reg lro=780 swapByteOffset=0 ti=16 vIdx=2 rIdx=0 oIdx=0 buffer=3 iui=0
s_waitcnt lgkmcnt(10)                              // lgkmcnt=0 vmcnt=-1wait for prior local read local write old=6, new=6 newLW=0 newLR=0
v_mfma_f64_16x16x4_f64 a[0+0:7+0], v[vgprValuB_X1_I0+0+0+0:vgprValuB_X1_I0+0+0+0+1], v[vgprValuA_X1_I0+0+0+0:vgprValuA_X1_I0+0+0+0+1], a[0:7]
/*  mfmaIndex:9  */
/* localReadsVacancy: latencyLeft 5 */
_ds_load_b64 v[vgprValuA_X3_I0+6:vgprValuA_X3_I0+6+1], v[vgprLocalReadAddrA] offset:6624 // L -> Reg lro=780 swapByteOffset=0 ti=16 vIdx=3 rIdx=0 oIdx=0 buffer=3 iui=0
_ds_load_b64 v[vgprValuB_X3_I0+2:vgprValuB_X3_I0+2+1], v[vgprLocalReadAddrB] offset:12800 // L -> Reg lro=1536 swapByteOffset=0 ti=64 vIdx=1 rIdx=0 oIdx=0 buffer=3 iui=0
v_mfma_f64_16x16x4_f64 a[8+0:15+0], v[vgprValuB_X1_I0+0+0+0:vgprValuB_X1_I0+0+0+0+1], v[vgprValuA_X1_I0+2+0+0:vgprValuA_X1_I0+2+0+0+1], a[8:15]
/*  mfmaIndex:10  */
/* localReadsVacancy: latencyLeft 5 */
v_mfma_f64_16x16x4_f64 a[16+0:23+0], v[vgprValuB_X1_I0+0+0+0:vgprValuB_X1_I0+0+0+0+1], v[vgprValuA_X1_I0+4+0+0:vgprValuA_X1_I0+4+0+0+1], a[16:23]
/*  mfmaIndex:11  */
/* localReadsVacancy: latencyLeft 5 */
	;; [unrolled: 3-line block ×3, first 2 shown]
/* 1 LDS buffer: read-sync-write */
s_waitcnt lgkmcnt(0)                               // 
s_barrier                                          // 
v_mfma_f64_16x16x4_f64 a[56+0:63+0], v[vgprValuB_X1_I0+2+0+0:vgprValuB_X1_I0+2+0+0+1], v[vgprValuA_X1_I0+6+0+0:vgprValuA_X1_I0+6+0+0+1], a[56:63]
/*  mfmaIndex:13  */
s_setprio 3                                        // store optimization
/* sched write - iter 1 writesPerItem=2 */
s_waitcnt vmcnt(0)                                 // lgkmcnt=-1 vmcnt=0wait for global read before writing to local
_ds_store_b64 v[vgprLocalWriteAddrA], v[vgprG2LA+0:vgprG2LA+0+1] offset:0 // lwoA_0_0_0_0 = (0 + 0*LSCA)*(MT0I+PAD) + (0*LSPA) = 0
_ds_store_b64 v[vgprLocalWriteAddrA], v[vgprG2LA+2:vgprG2LA+2+1] offset:520 // lwoA_0_1_0_0 = (1 + 0*LSCA)*(MT0I+PAD) + (0*LSPA) = 520
v_mfma_f64_16x16x4_f64 a[48+0:55+0], v[vgprValuB_X1_I0+2+0+0:vgprValuB_X1_I0+2+0+0+1], v[vgprValuA_X1_I0+4+0+0:vgprValuA_X1_I0+4+0+0+1], a[48:55]
/*  mfmaIndex:14  */
_global_load_b128 v[vgprG2LA+0:vgprG2LA+0+3], v[vgprGlobalReadAddrA+0:vgprGlobalReadAddrA+0+1], off, offset:0 // G -> Reg 0_0_0_0
v_mfma_f64_16x16x4_f64 a[40+0:47+0], v[vgprValuB_X1_I0+2+0+0:vgprValuB_X1_I0+2+0+0+1], v[vgprValuA_X1_I0+2+0+0:vgprValuA_X1_I0+2+0+0+1], a[40:47]
/*  mfmaIndex:15  */
/* sched write - iter 1 writesPerItem=2 */
s_waitcnt vmcnt(0)                                 // lgkmcnt=-1 vmcnt=0wait for global read before writing to local
_ds_store_b64 v[vgprLocalWriteAddrA], v[vgprG2LA+4:vgprG2LA+4+1] offset:256 // lwoA_0_0_1_0 = (0 + 0*LSCA)*(MT0I+PAD) + (1*LSPA) = 256
_ds_store_b64 v[vgprLocalWriteAddrA], v[vgprG2LA+6:vgprG2LA+6+1] offset:776 // lwoA_0_1_1_0 = (1 + 0*LSCA)*(MT0I+PAD) + (1*LSPA) = 776
v_mfma_f64_16x16x4_f64 a[32+0:39+0], v[vgprValuB_X1_I0+2+0+0:vgprValuB_X1_I0+2+0+0+1], v[vgprValuA_X1_I0+0+0+0:vgprValuA_X1_I0+0+0+0+1], a[32:39]
/* numPrefetchIter=0 */
/* dataAtIterA=0 numReadsIterA=2 skipReadsIterA=1 readsPerIterA=4 */
/* dataAtIterB=0 numReadsIterB=2 skipReadsIterB=1 readsPerIterB=2 */


/* iter 2 (reset local read pointers iteration)  (swap local read pointers iteration)  */

/*  grEndMfmaIndex:4, lwStartMfmaIndex:13, lwEndMfmaIndex:24  */
/*  numMfmaForLR:5, barrierMfmaIndex:26, LocalWritePerMfma:0.500 */
/*  mfmaIndex:16  */
_global_load_b128 v[vgprG2LA+4:vgprG2LA+4+3], v[vgprGlobalReadAddrA+2:vgprGlobalReadAddrA+2+1], off, offset:0 // G -> Reg 0_0_1_0
v_mfma_f64_16x16x4_f64 a[0+0:7+0], v[vgprValuB_X2_I0+0+0+0:vgprValuB_X2_I0+0+0+0+1], v[vgprValuA_X2_I0+0+0+0:vgprValuA_X2_I0+0+0+0+1], a[0:7]
/*  mfmaIndex:17  */
/* sched write - iter 2 writesPerItem=1 */
s_waitcnt vmcnt(0)                                 // lgkmcnt=-1 vmcnt=0wait for global read before writing to local
_ds_store_b128 v[vgprLocalWriteAddrB], v[vgprG2LB+0:vgprG2LB+0+3] offset:0 // lwoB_0_0_0_0 = (0*LSCB) + (0*LSPB)(*MT1J+PAD) = 0
v_mfma_f64_16x16x4_f64 a[8+0:15+0], v[vgprValuB_X2_I0+0+0+0:vgprValuB_X2_I0+0+0+0+1], v[vgprValuA_X2_I0+2+0+0:vgprValuA_X2_I0+2+0+0+1], a[8:15]
/*  mfmaIndex:18  */
_global_load_b128 v[vgprG2LB+0:vgprG2LB+0+3], v[vgprGlobalReadAddrB+0:vgprGlobalReadAddrB+0+1], off, offset:0 // G -> Reg 0_0_0_0
v_mfma_f64_16x16x4_f64 a[16+0:23+0], v[vgprValuB_X2_I0+0+0+0:vgprValuB_X2_I0+0+0+0+1], v[vgprValuA_X2_I0+4+0+0:vgprValuA_X2_I0+4+0+0+1], a[16:23]
/*  mfmaIndex:19  */
/* sched write - iter 2 writesPerItem=1 */
s_waitcnt vmcnt(0)                                 // lgkmcnt=-1 vmcnt=0wait for global read before writing to local
_ds_store_b128 v[vgprLocalWriteAddrB], v[vgprG2LB+4:vgprG2LB+4+3] offset:4096 // lwoB_0_0_1_0 = (0*LSCB) + (1*LSPB)(*MT1J+PAD) = 4096
v_mfma_f64_16x16x4_f64 a[24+0:31+0], v[vgprValuB_X2_I0+0+0+0:vgprValuB_X2_I0+0+0+0+1], v[vgprValuA_X2_I0+6+0+0:vgprValuA_X2_I0+6+0+0+1], a[24:31]
/*  mfmaIndex:20  */
_global_load_b128 v[vgprG2LB+4:vgprG2LB+4+3], v[vgprGlobalReadAddrB+2:vgprGlobalReadAddrB+2+1], off, offset:0 // G -> Reg 0_0_1_0
v_mfma_f64_16x16x4_f64 a[56+0:63+0], v[vgprValuB_X2_I0+2+0+0:vgprValuB_X2_I0+2+0+0+1], v[vgprValuA_X2_I0+6+0+0:vgprValuA_X2_I0+6+0+0+1], a[56:63]
/*  mfmaIndex:21  */
/* sched write - iter 2 writesPerItem=1 */
s_waitcnt vmcnt(0)                                 // lgkmcnt=-1 vmcnt=0wait for global read before writing to local
_ds_store_b128 v[vgprLocalWriteAddrB], v[vgprG2LB+8:vgprG2LB+8+3] offset:8192 // lwoB_0_0_2_0 = (0*LSCB) + (2*LSPB)(*MT1J+PAD) = 8192
v_mfma_f64_16x16x4_f64 a[48+0:55+0], v[vgprValuB_X2_I0+2+0+0:vgprValuB_X2_I0+2+0+0+1], v[vgprValuA_X2_I0+4+0+0:vgprValuA_X2_I0+4+0+0+1], a[48:55]
/*  mfmaIndex:22  */
_global_load_b128 v[vgprG2LB+8:vgprG2LB+8+3], v[vgprGlobalReadAddrB+4:vgprGlobalReadAddrB+4+1], off, offset:0 // G -> Reg 0_0_2_0
v_mfma_f64_16x16x4_f64 a[40+0:47+0], v[vgprValuB_X2_I0+2+0+0:vgprValuB_X2_I0+2+0+0+1], v[vgprValuA_X2_I0+2+0+0:vgprValuA_X2_I0+2+0+0+1], a[40:47]
/*  mfmaIndex:23  */
/* sched write - iter 2 writesPerItem=1 */
s_waitcnt vmcnt(0)                                 // lgkmcnt=-1 vmcnt=0wait for global read before writing to local
_ds_store_b128 v[vgprLocalWriteAddrB], v[vgprG2LB+12:vgprG2LB+12+3] offset:12288 // lwoB_0_0_3_0 = (0*LSCB) + (3*LSPB)(*MT1J+PAD) = 12288

/* local read swap offsets a */

/* local read swap offsets b */

/* local read init pointers a */

/* localReadInitPointers */

/* local read init pointers b */

/* localReadInitPointers */
v_mfma_f64_16x16x4_f64 a[32+0:39+0], v[vgprValuB_X2_I0+2+0+0:vgprValuB_X2_I0+2+0+0+1], v[vgprValuA_X2_I0+0+0+0:vgprValuA_X2_I0+0+0+0+1], a[32:39]


/* iter 3 (swap and reset local write pointers iteration)  */

/*  grEndMfmaIndex:4, lwStartMfmaIndex:13, lwEndMfmaIndex:24  */
/*  numMfmaForLR:5, barrierMfmaIndex:26, LocalWritePerMfma:0.500 */
/*  mfmaIndex:24  */
_global_load_b128 v[vgprG2LB+12:vgprG2LB+12+3], v[vgprGlobalReadAddrB+6:vgprGlobalReadAddrB+6+1], off, offset:0 // G -> Reg 0_0_3_0

/* local write swap offsets a */

/* local write swap offsets b */
v_mfma_f64_16x16x4_f64 a[0+0:7+0], v[vgprValuB_X3_I0+0+0+0:vgprValuB_X3_I0+0+0+0+1], v[vgprValuA_X3_I0+0+0+0:vgprValuA_X3_I0+0+0+0+1], a[0:7]
/*  mfmaIndex:25  */
v_mfma_f64_16x16x4_f64 a[8+0:15+0], v[vgprValuB_X3_I0+0+0+0:vgprValuB_X3_I0+0+0+0+1], v[vgprValuA_X3_I0+2+0+0:vgprValuA_X3_I0+2+0+0+1], a[8:15]
s_setprio 0                                        // store optimization
/*  mfmaIndex:26  */
s_waitcnt lgkmcnt(0)                               // lgkmcnt=0 vmcnt=-13wait for local write
// Skip force waitcnt0
s_barrier //
v_mfma_f64_16x16x4_f64 a[16+0:23+0], v[vgprValuB_X3_I0+0+0+0:vgprValuB_X3_I0+0+0+0+1], v[vgprValuA_X3_I0+4+0+0:vgprValuA_X3_I0+4+0+0+1], a[16:23]
/*  mfmaIndex:27  */
s_setprio 3                                        // store optimization
_ds_load_b64 v[vgprValuA_X0_I0+0:vgprValuA_X0_I0+0+1], v[vgprLocalReadAddrA] offset:0 // L -> Reg lro=0 swapByteOffset=0 ti=16 vIdx=0 rIdx=0 oIdx=0 buffer=0 iui=0
_ds_load_b64 v[vgprValuB_X0_I0+0:vgprValuB_X0_I0+0+1], v[vgprLocalReadAddrB] offset:0 // L -> Reg lro=0 swapByteOffset=0 ti=64 vIdx=0 rIdx=0 oIdx=0 buffer=0 iui=0
v_mfma_f64_16x16x4_f64 a[24+0:31+0], v[vgprValuB_X3_I0+0+0+0:vgprValuB_X3_I0+0+0+0+1], v[vgprValuA_X3_I0+6+0+0:vgprValuA_X3_I0+6+0+0+1], a[24:31]
/*  mfmaIndex:28  */
_ds_load_b64 v[vgprValuA_X0_I0+2:vgprValuA_X0_I0+2+1], v[vgprLocalReadAddrA] offset:128 // L -> Reg lro=0 swapByteOffset=0 ti=16 vIdx=1 rIdx=0 oIdx=0 buffer=0 iui=0
_ds_load_b64 v[vgprValuA_X0_I0+4:vgprValuA_X0_I0+4+1], v[vgprLocalReadAddrA] offset:256 // L -> Reg lro=0 swapByteOffset=0 ti=16 vIdx=2 rIdx=0 oIdx=0 buffer=0 iui=0
v_mfma_f64_16x16x4_f64 a[56+0:63+0], v[vgprValuB_X3_I0+2+0+0:vgprValuB_X3_I0+2+0+0+1], v[vgprValuA_X3_I0+6+0+0:vgprValuA_X3_I0+6+0+0+1], a[56:63]
/*  mfmaIndex:29  */
_ds_load_b64 v[vgprValuA_X0_I0+6:vgprValuA_X0_I0+6+1], v[vgprLocalReadAddrA] offset:384 // L -> Reg lro=0 swapByteOffset=0 ti=16 vIdx=3 rIdx=0 oIdx=0 buffer=0 iui=0
_ds_load_b64 v[vgprValuB_X0_I0+2:vgprValuB_X0_I0+2+1], v[vgprLocalReadAddrB] offset:512 // L -> Reg lro=0 swapByteOffset=0 ti=64 vIdx=1 rIdx=0 oIdx=0 buffer=0 iui=0
v_mfma_f64_16x16x4_f64 a[48+0:55+0], v[vgprValuB_X3_I0+2+0+0:vgprValuB_X3_I0+2+0+0+1], v[vgprValuA_X3_I0+4+0+0:vgprValuA_X3_I0+4+0+0+1], a[48:55]
/*  mfmaIndex:30  */
v_mfma_f64_16x16x4_f64 a[40+0:47+0], v[vgprValuB_X3_I0+2+0+0:vgprValuB_X3_I0+2+0+0+1], v[vgprValuA_X3_I0+2+0+0:vgprValuA_X3_I0+2+0+0+1], a[40:47]
/*  mfmaIndex:31  */
v_mfma_f64_16x16x4_f64 a[32+0:39+0], v[vgprValuB_X3_I0+2+0+0:vgprValuB_X3_I0+2+0+0+1], v[vgprValuA_X3_I0+0+0+0:vgprValuA_X3_I0+0+0+0+1], a[32:39]
s_setprio 0                                        // store optimization


/******************************************/
/* Unrolled Loop - End                    */
/******************************************/


/* closeLoop loopL finalLoop=1 tailLoop=0 */
s_sub_u32 s[sgprLoopCounterL], s[sgprLoopCounterL], 1 // dec counterL
s_cmp_eq_i32 s[sgprLoopCounterL], 0x2              // counterL==2
s_cbranch_scc0 LoopBeginL_1                        // restart LoopL
LoopEndL_2:


/* Before NLL: Check VGPR.checkin for INT8 LW */


/******************************************/
/* Ord. NoGlobalLoadLoop - Begin                                      */
/******************************************/


	;; [unrolled: 1-line block ×3, first 2 shown]
/* iter 0 */

/*  grEndMfmaIndex:4, lwStartMfmaIndex:13, lwEndMfmaIndex:24  */
/*  numMfmaForLR:5, barrierMfmaIndex:26, LocalWritePerMfma:0.500 */
/*  mfmaIndex:0  */
s_waitcnt lgkmcnt(0)                               // lgkmcnt=0 vmcnt=-1wait for prior local read local write old=0, new=0 newLW=0 newLR=0
v_mfma_f64_16x16x4_f64 a[0+0:7+0], v[vgprValuB_X0_I0+0+0+0:vgprValuB_X0_I0+0+0+0+1], v[vgprValuA_X0_I0+0+0+0:vgprValuA_X0_I0+0+0+0+1], a[0:7]
/*  mfmaIndex:1  */
_ds_load_b64 v[vgprValuA_X1_I0+0:vgprValuA_X1_I0+0+1], v[vgprLocalReadAddrA] offset:2080 // L -> Reg lro=260 swapByteOffset=0 ti=16 vIdx=0 rIdx=0 oIdx=0 buffer=1 iui=0
_ds_load_b64 v[vgprValuB_X1_I0+0:vgprValuB_X1_I0+0+1], v[vgprLocalReadAddrB] offset:4096 // L -> Reg lro=512 swapByteOffset=0 ti=64 vIdx=0 rIdx=0 oIdx=0 buffer=1 iui=0

/* global read inc A loopL */
_v_add_co_u32  v[vgprGlobalReadAddrA+0+0], vcc, v[vgprGlobalReadAddrA+0+0], v[vgprGlobalReadIncsA+0+0] // gra += incAL (lower)
_v_addc_co_u32 v[vgprGlobalReadAddrA+0+1], vcc, v[vgprGlobalReadAddrA+0+1], v[vgprGlobalReadIncsA+0+1], vcc // gra += incAL (upper)
_v_add_co_u32  v[vgprGlobalReadAddrA+2+0], vcc, v[vgprGlobalReadAddrA+2+0], v[vgprGlobalReadIncsA+0+0] // gra += incAL (lower)
v_mfma_f64_16x16x4_f64 a[8+0:15+0], v[vgprValuB_X0_I0+0+0+0:vgprValuB_X0_I0+0+0+0+1], v[vgprValuA_X0_I0+2+0+0:vgprValuA_X0_I0+2+0+0+1], a[8:15]
/*  mfmaIndex:2  */
_ds_load_b64 v[vgprValuA_X1_I0+2:vgprValuA_X1_I0+2+1], v[vgprLocalReadAddrA] offset:2208 // L -> Reg lro=260 swapByteOffset=0 ti=16 vIdx=1 rIdx=0 oIdx=0 buffer=1 iui=0
_ds_load_b64 v[vgprValuA_X1_I0+4:vgprValuA_X1_I0+4+1], v[vgprLocalReadAddrA] offset:2336 // L -> Reg lro=260 swapByteOffset=0 ti=16 vIdx=2 rIdx=0 oIdx=0 buffer=1 iui=0
_v_addc_co_u32 v[vgprGlobalReadAddrA+2+1], vcc, v[vgprGlobalReadAddrA+2+1], v[vgprGlobalReadIncsA+0+1], vcc // gra += incAL (upper)

/* global read inc B loopL */
_v_add_co_u32  v[vgprGlobalReadAddrB+0+0], vcc, v[vgprGlobalReadAddrB+0+0], v[vgprGlobalReadIncsB+0+0] // gra += incBL (lower)
_v_addc_co_u32 v[vgprGlobalReadAddrB+0+1], vcc, v[vgprGlobalReadAddrB+0+1], v[vgprGlobalReadIncsB+0+1], vcc // gra += incBL (upper)
v_mfma_f64_16x16x4_f64 a[16+0:23+0], v[vgprValuB_X0_I0+0+0+0:vgprValuB_X0_I0+0+0+0+1], v[vgprValuA_X0_I0+4+0+0:vgprValuA_X0_I0+4+0+0+1], a[16:23]
/*  mfmaIndex:3  */
_ds_load_b64 v[vgprValuA_X1_I0+6:vgprValuA_X1_I0+6+1], v[vgprLocalReadAddrA] offset:2464 // L -> Reg lro=260 swapByteOffset=0 ti=16 vIdx=3 rIdx=0 oIdx=0 buffer=1 iui=0
_ds_load_b64 v[vgprValuB_X1_I0+2:vgprValuB_X1_I0+2+1], v[vgprLocalReadAddrB] offset:4608 // L -> Reg lro=512 swapByteOffset=0 ti=64 vIdx=1 rIdx=0 oIdx=0 buffer=1 iui=0
/* localReadsVacancy: latencyLeft 1 */
_v_add_co_u32  v[vgprGlobalReadAddrB+2+0], vcc, v[vgprGlobalReadAddrB+2+0], v[vgprGlobalReadIncsB+0+0] // gra += incBL (lower)
_v_addc_co_u32 v[vgprGlobalReadAddrB+2+1], vcc, v[vgprGlobalReadAddrB+2+1], v[vgprGlobalReadIncsB+0+1], vcc // gra += incBL (upper)
_v_add_co_u32  v[vgprGlobalReadAddrB+4+0], vcc, v[vgprGlobalReadAddrB+4+0], v[vgprGlobalReadIncsB+0+0] // gra += incBL (lower)
v_mfma_f64_16x16x4_f64 a[24+0:31+0], v[vgprValuB_X0_I0+0+0+0:vgprValuB_X0_I0+0+0+0+1], v[vgprValuA_X0_I0+6+0+0:vgprValuA_X0_I0+6+0+0+1], a[24:31]
/*  mfmaIndex:4  */
/* localReadsVacancy: latencyLeft 5 */
_ds_load_b64 v[vgprValuA_X2_I0+0:vgprValuA_X2_I0+0+1], v[vgprLocalReadAddrA] offset:4160 // L -> Reg lro=520 swapByteOffset=0 ti=16 vIdx=0 rIdx=0 oIdx=0 buffer=2 iui=0
_ds_load_b64 v[vgprValuB_X2_I0+0:vgprValuB_X2_I0+0+1], v[vgprLocalReadAddrB] offset:8192 // L -> Reg lro=1024 swapByteOffset=0 ti=64 vIdx=0 rIdx=0 oIdx=0 buffer=2 iui=0
_v_addc_co_u32 v[vgprGlobalReadAddrB+4+1], vcc, v[vgprGlobalReadAddrB+4+1], v[vgprGlobalReadIncsB+0+1], vcc // gra += incBL (upper)
_v_add_co_u32  v[vgprGlobalReadAddrB+6+0], vcc, v[vgprGlobalReadAddrB+6+0], v[vgprGlobalReadIncsB+0+0] // gra += incBL (lower)
_v_addc_co_u32 v[vgprGlobalReadAddrB+6+1], vcc, v[vgprGlobalReadAddrB+6+1], v[vgprGlobalReadIncsB+0+1], vcc // gra += incBL (upper)
v_mfma_f64_16x16x4_f64 a[56+0:63+0], v[vgprValuB_X0_I0+2+0+0:vgprValuB_X0_I0+2+0+0+1], v[vgprValuA_X0_I0+6+0+0:vgprValuA_X0_I0+6+0+0+1], a[56:63]
/*  mfmaIndex:5  */
/* localReadsVacancy: latencyLeft 5 */
_ds_load_b64 v[vgprValuA_X2_I0+2:vgprValuA_X2_I0+2+1], v[vgprLocalReadAddrA] offset:4288 // L -> Reg lro=520 swapByteOffset=0 ti=16 vIdx=1 rIdx=0 oIdx=0 buffer=2 iui=0
_ds_load_b64 v[vgprValuA_X2_I0+4:vgprValuA_X2_I0+4+1], v[vgprLocalReadAddrA] offset:4416 // L -> Reg lro=520 swapByteOffset=0 ti=16 vIdx=2 rIdx=0 oIdx=0 buffer=2 iui=0
v_mfma_f64_16x16x4_f64 a[48+0:55+0], v[vgprValuB_X0_I0+2+0+0:vgprValuB_X0_I0+2+0+0+1], v[vgprValuA_X0_I0+4+0+0:vgprValuA_X0_I0+4+0+0+1], a[48:55]
/*  mfmaIndex:6  */
/* localReadsVacancy: latencyLeft 5 */
_ds_load_b64 v[vgprValuA_X2_I0+6:vgprValuA_X2_I0+6+1], v[vgprLocalReadAddrA] offset:4544 // L -> Reg lro=520 swapByteOffset=0 ti=16 vIdx=3 rIdx=0 oIdx=0 buffer=2 iui=0
_ds_load_b64 v[vgprValuB_X2_I0+2:vgprValuB_X2_I0+2+1], v[vgprLocalReadAddrB] offset:8704 // L -> Reg lro=1024 swapByteOffset=0 ti=64 vIdx=1 rIdx=0 oIdx=0 buffer=2 iui=0
v_mfma_f64_16x16x4_f64 a[40+0:47+0], v[vgprValuB_X0_I0+2+0+0:vgprValuB_X0_I0+2+0+0+1], v[vgprValuA_X0_I0+2+0+0:vgprValuA_X0_I0+2+0+0+1], a[40:47]
/*  mfmaIndex:7  */
/* localReadsVacancy: latencyLeft 5 */
_ds_load_b64 v[vgprValuA_X3_I0+0:vgprValuA_X3_I0+0+1], v[vgprLocalReadAddrA] offset:6240 // L -> Reg lro=780 swapByteOffset=0 ti=16 vIdx=0 rIdx=0 oIdx=0 buffer=3 iui=0
_ds_load_b64 v[vgprValuB_X3_I0+0:vgprValuB_X3_I0+0+1], v[vgprLocalReadAddrB] offset:12288 // L -> Reg lro=1536 swapByteOffset=0 ti=64 vIdx=0 rIdx=0 oIdx=0 buffer=3 iui=0
v_mfma_f64_16x16x4_f64 a[32+0:39+0], v[vgprValuB_X0_I0+2+0+0:vgprValuB_X0_I0+2+0+0+1], v[vgprValuA_X0_I0+0+0+0:vgprValuA_X0_I0+0+0+0+1], a[32:39]
/* numPrefetchIter=0 */
/* dataAtIterA=-1 numReadsIterA=1 skipReadsIterA=1 readsPerIterA=4 */
/* dataAtIterB=-1 numReadsIterB=1 skipReadsIterB=1 readsPerIterB=2 */


/* iter 1 */

/*  grEndMfmaIndex:4, lwStartMfmaIndex:13, lwEndMfmaIndex:24  */
/*  numMfmaForLR:5, barrierMfmaIndex:26, LocalWritePerMfma:0.500 */
/*  mfmaIndex:8  */
/* localReadsVacancy: latencyLeft 5 */
_ds_load_b64 v[vgprValuA_X3_I0+2:vgprValuA_X3_I0+2+1], v[vgprLocalReadAddrA] offset:6368 // L -> Reg lro=780 swapByteOffset=0 ti=16 vIdx=1 rIdx=0 oIdx=0 buffer=3 iui=0
_ds_load_b64 v[vgprValuA_X3_I0+4:vgprValuA_X3_I0+4+1], v[vgprLocalReadAddrA] offset:6496 // L -> Reg lro=780 swapByteOffset=0 ti=16 vIdx=2 rIdx=0 oIdx=0 buffer=3 iui=0
s_waitcnt lgkmcnt(10)                              // lgkmcnt=0 vmcnt=-1wait for prior local read local write old=6, new=6 newLW=0 newLR=0
v_mfma_f64_16x16x4_f64 a[0+0:7+0], v[vgprValuB_X1_I0+0+0+0:vgprValuB_X1_I0+0+0+0+1], v[vgprValuA_X1_I0+0+0+0:vgprValuA_X1_I0+0+0+0+1], a[0:7]
/*  mfmaIndex:9  */
/* localReadsVacancy: latencyLeft 5 */
_ds_load_b64 v[vgprValuA_X3_I0+6:vgprValuA_X3_I0+6+1], v[vgprLocalReadAddrA] offset:6624 // L -> Reg lro=780 swapByteOffset=0 ti=16 vIdx=3 rIdx=0 oIdx=0 buffer=3 iui=0
_ds_load_b64 v[vgprValuB_X3_I0+2:vgprValuB_X3_I0+2+1], v[vgprLocalReadAddrB] offset:12800 // L -> Reg lro=1536 swapByteOffset=0 ti=64 vIdx=1 rIdx=0 oIdx=0 buffer=3 iui=0
v_mfma_f64_16x16x4_f64 a[8+0:15+0], v[vgprValuB_X1_I0+0+0+0:vgprValuB_X1_I0+0+0+0+1], v[vgprValuA_X1_I0+2+0+0:vgprValuA_X1_I0+2+0+0+1], a[8:15]
/*  mfmaIndex:10  */
/* localReadsVacancy: latencyLeft 5 */
v_mfma_f64_16x16x4_f64 a[16+0:23+0], v[vgprValuB_X1_I0+0+0+0:vgprValuB_X1_I0+0+0+0+1], v[vgprValuA_X1_I0+4+0+0:vgprValuA_X1_I0+4+0+0+1], a[16:23]
/*  mfmaIndex:11  */
/* localReadsVacancy: latencyLeft 5 */
	;; [unrolled: 3-line block ×3, first 2 shown]
/* 1 LDS buffer: read-sync-write */
s_waitcnt lgkmcnt(0)                               // 
s_barrier                                          // 
v_mfma_f64_16x16x4_f64 a[56+0:63+0], v[vgprValuB_X1_I0+2+0+0:vgprValuB_X1_I0+2+0+0+1], v[vgprValuA_X1_I0+6+0+0:vgprValuA_X1_I0+6+0+0+1], a[56:63]
/*  mfmaIndex:13  */
s_setprio 3                                        // store optimization
/* sched write - iter 1 writesPerItem=2 */
s_waitcnt vmcnt(0)                                 // lgkmcnt=-1 vmcnt=0wait for global read before writing to local
_ds_store_b64 v[vgprLocalWriteAddrA], v[vgprG2LA+0:vgprG2LA+0+1] offset:0 // lwoA_0_0_0_0 = (0 + 0*LSCA)*(MT0I+PAD) + (0*LSPA) = 0
_ds_store_b64 v[vgprLocalWriteAddrA], v[vgprG2LA+2:vgprG2LA+2+1] offset:520 // lwoA_0_1_0_0 = (1 + 0*LSCA)*(MT0I+PAD) + (0*LSPA) = 520
v_mfma_f64_16x16x4_f64 a[48+0:55+0], v[vgprValuB_X1_I0+2+0+0:vgprValuB_X1_I0+2+0+0+1], v[vgprValuA_X1_I0+4+0+0:vgprValuA_X1_I0+4+0+0+1], a[48:55]
/*  mfmaIndex:14  */
v_mfma_f64_16x16x4_f64 a[40+0:47+0], v[vgprValuB_X1_I0+2+0+0:vgprValuB_X1_I0+2+0+0+1], v[vgprValuA_X1_I0+2+0+0:vgprValuA_X1_I0+2+0+0+1], a[40:47]
/*  mfmaIndex:15  */
/* sched write - iter 1 writesPerItem=2 */
s_waitcnt vmcnt(0)                                 // lgkmcnt=-1 vmcnt=0wait for global read before writing to local
_ds_store_b64 v[vgprLocalWriteAddrA], v[vgprG2LA+4:vgprG2LA+4+1] offset:256 // lwoA_0_0_1_0 = (0 + 0*LSCA)*(MT0I+PAD) + (1*LSPA) = 256
_ds_store_b64 v[vgprLocalWriteAddrA], v[vgprG2LA+6:vgprG2LA+6+1] offset:776 // lwoA_0_1_1_0 = (1 + 0*LSCA)*(MT0I+PAD) + (1*LSPA) = 776
v_mfma_f64_16x16x4_f64 a[32+0:39+0], v[vgprValuB_X1_I0+2+0+0:vgprValuB_X1_I0+2+0+0+1], v[vgprValuA_X1_I0+0+0+0:vgprValuA_X1_I0+0+0+0+1], a[32:39]
/* numPrefetchIter=0 */
/* dataAtIterA=0 numReadsIterA=2 skipReadsIterA=1 readsPerIterA=4 */
/* dataAtIterB=0 numReadsIterB=2 skipReadsIterB=1 readsPerIterB=2 */


/* iter 2 (reset local read pointers iteration)  (swap local read pointers iteration)  */

/*  grEndMfmaIndex:4, lwStartMfmaIndex:13, lwEndMfmaIndex:24  */
/*  numMfmaForLR:5, barrierMfmaIndex:26, LocalWritePerMfma:0.500 */
/*  mfmaIndex:16  */
v_mfma_f64_16x16x4_f64 a[0+0:7+0], v[vgprValuB_X2_I0+0+0+0:vgprValuB_X2_I0+0+0+0+1], v[vgprValuA_X2_I0+0+0+0:vgprValuA_X2_I0+0+0+0+1], a[0:7]
/*  mfmaIndex:17  */
/* sched write - iter 2 writesPerItem=1 */
s_waitcnt vmcnt(0)                                 // lgkmcnt=-1 vmcnt=0wait for global read before writing to local
_ds_store_b128 v[vgprLocalWriteAddrB], v[vgprG2LB+0:vgprG2LB+0+3] offset:0 // lwoB_0_0_0_0 = (0*LSCB) + (0*LSPB)(*MT1J+PAD) = 0
v_mfma_f64_16x16x4_f64 a[8+0:15+0], v[vgprValuB_X2_I0+0+0+0:vgprValuB_X2_I0+0+0+0+1], v[vgprValuA_X2_I0+2+0+0:vgprValuA_X2_I0+2+0+0+1], a[8:15]
/*  mfmaIndex:18  */
v_mfma_f64_16x16x4_f64 a[16+0:23+0], v[vgprValuB_X2_I0+0+0+0:vgprValuB_X2_I0+0+0+0+1], v[vgprValuA_X2_I0+4+0+0:vgprValuA_X2_I0+4+0+0+1], a[16:23]
/*  mfmaIndex:19  */
/* sched write - iter 2 writesPerItem=1 */
s_waitcnt vmcnt(0)                                 // lgkmcnt=-1 vmcnt=0wait for global read before writing to local
_ds_store_b128 v[vgprLocalWriteAddrB], v[vgprG2LB+4:vgprG2LB+4+3] offset:4096 // lwoB_0_0_1_0 = (0*LSCB) + (1*LSPB)(*MT1J+PAD) = 4096
v_mfma_f64_16x16x4_f64 a[24+0:31+0], v[vgprValuB_X2_I0+0+0+0:vgprValuB_X2_I0+0+0+0+1], v[vgprValuA_X2_I0+6+0+0:vgprValuA_X2_I0+6+0+0+1], a[24:31]
/*  mfmaIndex:20  */
v_mfma_f64_16x16x4_f64 a[56+0:63+0], v[vgprValuB_X2_I0+2+0+0:vgprValuB_X2_I0+2+0+0+1], v[vgprValuA_X2_I0+6+0+0:vgprValuA_X2_I0+6+0+0+1], a[56:63]
/*  mfmaIndex:21  */
/* sched write - iter 2 writesPerItem=1 */
s_waitcnt vmcnt(0)                                 // lgkmcnt=-1 vmcnt=0wait for global read before writing to local
_ds_store_b128 v[vgprLocalWriteAddrB], v[vgprG2LB+8:vgprG2LB+8+3] offset:8192 // lwoB_0_0_2_0 = (0*LSCB) + (2*LSPB)(*MT1J+PAD) = 8192
v_mfma_f64_16x16x4_f64 a[48+0:55+0], v[vgprValuB_X2_I0+2+0+0:vgprValuB_X2_I0+2+0+0+1], v[vgprValuA_X2_I0+4+0+0:vgprValuA_X2_I0+4+0+0+1], a[48:55]
/*  mfmaIndex:22  */
v_mfma_f64_16x16x4_f64 a[40+0:47+0], v[vgprValuB_X2_I0+2+0+0:vgprValuB_X2_I0+2+0+0+1], v[vgprValuA_X2_I0+2+0+0:vgprValuA_X2_I0+2+0+0+1], a[40:47]
/*  mfmaIndex:23  */
/* sched write - iter 2 writesPerItem=1 */
s_waitcnt vmcnt(0)                                 // lgkmcnt=-1 vmcnt=0wait for global read before writing to local
_ds_store_b128 v[vgprLocalWriteAddrB], v[vgprG2LB+12:vgprG2LB+12+3] offset:12288 // lwoB_0_0_3_0 = (0*LSCB) + (3*LSPB)(*MT1J+PAD) = 12288

/* local read swap offsets a */

/* local read swap offsets b */

/* local read init pointers a */

/* localReadInitPointers */

/* local read init pointers b */

/* localReadInitPointers */
v_mfma_f64_16x16x4_f64 a[32+0:39+0], v[vgprValuB_X2_I0+2+0+0:vgprValuB_X2_I0+2+0+0+1], v[vgprValuA_X2_I0+0+0+0:vgprValuA_X2_I0+0+0+0+1], a[32:39]


/* iter 3 (swap and reset local write pointers iteration)  */

/*  grEndMfmaIndex:4, lwStartMfmaIndex:13, lwEndMfmaIndex:24  */
/*  numMfmaForLR:5, barrierMfmaIndex:26, LocalWritePerMfma:0.500 */
/*  mfmaIndex:24  */

/* local write swap offsets a */

/* local write swap offsets b */
v_mfma_f64_16x16x4_f64 a[0+0:7+0], v[vgprValuB_X3_I0+0+0+0:vgprValuB_X3_I0+0+0+0+1], v[vgprValuA_X3_I0+0+0+0:vgprValuA_X3_I0+0+0+0+1], a[0:7]
/*  mfmaIndex:25  */
v_mfma_f64_16x16x4_f64 a[8+0:15+0], v[vgprValuB_X3_I0+0+0+0:vgprValuB_X3_I0+0+0+0+1], v[vgprValuA_X3_I0+2+0+0:vgprValuA_X3_I0+2+0+0+1], a[8:15]
s_setprio 0                                        // store optimization
/*  mfmaIndex:26  */
s_waitcnt lgkmcnt(0)                               // lgkmcnt=0 vmcnt=-13wait for local write
// Skip force waitcnt0
s_barrier //
v_mfma_f64_16x16x4_f64 a[16+0:23+0], v[vgprValuB_X3_I0+0+0+0:vgprValuB_X3_I0+0+0+0+1], v[vgprValuA_X3_I0+4+0+0:vgprValuA_X3_I0+4+0+0+1], a[16:23]
/*  mfmaIndex:27  */
s_setprio 3                                        // store optimization
_ds_load_b64 v[vgprValuA_X0_I0+0:vgprValuA_X0_I0+0+1], v[vgprLocalReadAddrA] offset:0 // L -> Reg lro=0 swapByteOffset=0 ti=16 vIdx=0 rIdx=0 oIdx=0 buffer=0 iui=0
_ds_load_b64 v[vgprValuB_X0_I0+0:vgprValuB_X0_I0+0+1], v[vgprLocalReadAddrB] offset:0 // L -> Reg lro=0 swapByteOffset=0 ti=64 vIdx=0 rIdx=0 oIdx=0 buffer=0 iui=0
v_mfma_f64_16x16x4_f64 a[24+0:31+0], v[vgprValuB_X3_I0+0+0+0:vgprValuB_X3_I0+0+0+0+1], v[vgprValuA_X3_I0+6+0+0:vgprValuA_X3_I0+6+0+0+1], a[24:31]
/*  mfmaIndex:28  */
_ds_load_b64 v[vgprValuA_X0_I0+2:vgprValuA_X0_I0+2+1], v[vgprLocalReadAddrA] offset:128 // L -> Reg lro=0 swapByteOffset=0 ti=16 vIdx=1 rIdx=0 oIdx=0 buffer=0 iui=0
_ds_load_b64 v[vgprValuA_X0_I0+4:vgprValuA_X0_I0+4+1], v[vgprLocalReadAddrA] offset:256 // L -> Reg lro=0 swapByteOffset=0 ti=16 vIdx=2 rIdx=0 oIdx=0 buffer=0 iui=0
v_mfma_f64_16x16x4_f64 a[56+0:63+0], v[vgprValuB_X3_I0+2+0+0:vgprValuB_X3_I0+2+0+0+1], v[vgprValuA_X3_I0+6+0+0:vgprValuA_X3_I0+6+0+0+1], a[56:63]
/*  mfmaIndex:29  */
_ds_load_b64 v[vgprValuA_X0_I0+6:vgprValuA_X0_I0+6+1], v[vgprLocalReadAddrA] offset:384 // L -> Reg lro=0 swapByteOffset=0 ti=16 vIdx=3 rIdx=0 oIdx=0 buffer=0 iui=0
_ds_load_b64 v[vgprValuB_X0_I0+2:vgprValuB_X0_I0+2+1], v[vgprLocalReadAddrB] offset:512 // L -> Reg lro=0 swapByteOffset=0 ti=64 vIdx=1 rIdx=0 oIdx=0 buffer=0 iui=0
v_mfma_f64_16x16x4_f64 a[48+0:55+0], v[vgprValuB_X3_I0+2+0+0:vgprValuB_X3_I0+2+0+0+1], v[vgprValuA_X3_I0+4+0+0:vgprValuA_X3_I0+4+0+0+1], a[48:55]
/*  mfmaIndex:30  */
v_mfma_f64_16x16x4_f64 a[40+0:47+0], v[vgprValuB_X3_I0+2+0+0:vgprValuB_X3_I0+2+0+0+1], v[vgprValuA_X3_I0+2+0+0:vgprValuA_X3_I0+2+0+0+1], a[40:47]
/*  mfmaIndex:31  */
v_mfma_f64_16x16x4_f64 a[32+0:39+0], v[vgprValuB_X3_I0+2+0+0:vgprValuB_X3_I0+2+0+0+1], v[vgprValuA_X3_I0+0+0+0:vgprValuA_X3_I0+0+0+0+1], a[32:39]
s_setprio 0                                        // store optimization

label_0014:


/******************************************/
/* Ord. NoLoadLoop - Begin                                      */
/******************************************/


	;; [unrolled: 1-line block ×4, first 2 shown]
/* iter 0 (last unrolled loop) */

/*  grEndMfmaIndex:0, lwStartMfmaIndex:24, lwEndMfmaIndex:24  */
/*  numMfmaForLR:5, barrierMfmaIndex:26, LocalWritePerMfma:0.500 */
/*  mfmaIndex:0  */
s_waitcnt lgkmcnt(0)                               // lgkmcnt=0 vmcnt=-1wait for prior local read local write old=0, new=0 newLW=0 newLR=0
v_mfma_f64_16x16x4_f64 a[0+0:7+0], v[vgprValuB_X0_I0+0+0+0:vgprValuB_X0_I0+0+0+0+1], v[vgprValuA_X0_I0+0+0+0:vgprValuA_X0_I0+0+0+0+1], a[0:7]
/*  mfmaIndex:1  */
_ds_load_b64 v[vgprValuA_X1_I0+0:vgprValuA_X1_I0+0+1], v[vgprLocalReadAddrA] offset:2080 // L -> Reg lro=260 swapByteOffset=0 ti=16 vIdx=0 rIdx=0 oIdx=0 buffer=1 iui=0
_ds_load_b64 v[vgprValuB_X1_I0+0:vgprValuB_X1_I0+0+1], v[vgprLocalReadAddrB] offset:4096 // L -> Reg lro=512 swapByteOffset=0 ti=64 vIdx=0 rIdx=0 oIdx=0 buffer=1 iui=0
v_mfma_f64_16x16x4_f64 a[8+0:15+0], v[vgprValuB_X0_I0+0+0+0:vgprValuB_X0_I0+0+0+0+1], v[vgprValuA_X0_I0+2+0+0:vgprValuA_X0_I0+2+0+0+1], a[8:15]
/*  mfmaIndex:2  */
_ds_load_b64 v[vgprValuA_X1_I0+2:vgprValuA_X1_I0+2+1], v[vgprLocalReadAddrA] offset:2208 // L -> Reg lro=260 swapByteOffset=0 ti=16 vIdx=1 rIdx=0 oIdx=0 buffer=1 iui=0
_ds_load_b64 v[vgprValuA_X1_I0+4:vgprValuA_X1_I0+4+1], v[vgprLocalReadAddrA] offset:2336 // L -> Reg lro=260 swapByteOffset=0 ti=16 vIdx=2 rIdx=0 oIdx=0 buffer=1 iui=0
v_mfma_f64_16x16x4_f64 a[16+0:23+0], v[vgprValuB_X0_I0+0+0+0:vgprValuB_X0_I0+0+0+0+1], v[vgprValuA_X0_I0+4+0+0:vgprValuA_X0_I0+4+0+0+1], a[16:23]
/*  mfmaIndex:3  */
_ds_load_b64 v[vgprValuA_X1_I0+6:vgprValuA_X1_I0+6+1], v[vgprLocalReadAddrA] offset:2464 // L -> Reg lro=260 swapByteOffset=0 ti=16 vIdx=3 rIdx=0 oIdx=0 buffer=1 iui=0
_ds_load_b64 v[vgprValuB_X1_I0+2:vgprValuB_X1_I0+2+1], v[vgprLocalReadAddrB] offset:4608 // L -> Reg lro=512 swapByteOffset=0 ti=64 vIdx=1 rIdx=0 oIdx=0 buffer=1 iui=0
/* localReadsVacancy: latencyLeft 1 */
v_mfma_f64_16x16x4_f64 a[24+0:31+0], v[vgprValuB_X0_I0+0+0+0:vgprValuB_X0_I0+0+0+0+1], v[vgprValuA_X0_I0+6+0+0:vgprValuA_X0_I0+6+0+0+1], a[24:31]
/*  mfmaIndex:4  */
/* localReadsVacancy: latencyLeft 5 */
_ds_load_b64 v[vgprValuA_X2_I0+0:vgprValuA_X2_I0+0+1], v[vgprLocalReadAddrA] offset:4160 // L -> Reg lro=520 swapByteOffset=0 ti=16 vIdx=0 rIdx=0 oIdx=0 buffer=2 iui=0
_ds_load_b64 v[vgprValuB_X2_I0+0:vgprValuB_X2_I0+0+1], v[vgprLocalReadAddrB] offset:8192 // L -> Reg lro=1024 swapByteOffset=0 ti=64 vIdx=0 rIdx=0 oIdx=0 buffer=2 iui=0
v_mfma_f64_16x16x4_f64 a[56+0:63+0], v[vgprValuB_X0_I0+2+0+0:vgprValuB_X0_I0+2+0+0+1], v[vgprValuA_X0_I0+6+0+0:vgprValuA_X0_I0+6+0+0+1], a[56:63]
/*  mfmaIndex:5  */
/* localReadsVacancy: latencyLeft 5 */
_ds_load_b64 v[vgprValuA_X2_I0+2:vgprValuA_X2_I0+2+1], v[vgprLocalReadAddrA] offset:4288 // L -> Reg lro=520 swapByteOffset=0 ti=16 vIdx=1 rIdx=0 oIdx=0 buffer=2 iui=0
_ds_load_b64 v[vgprValuA_X2_I0+4:vgprValuA_X2_I0+4+1], v[vgprLocalReadAddrA] offset:4416 // L -> Reg lro=520 swapByteOffset=0 ti=16 vIdx=2 rIdx=0 oIdx=0 buffer=2 iui=0
v_mfma_f64_16x16x4_f64 a[48+0:55+0], v[vgprValuB_X0_I0+2+0+0:vgprValuB_X0_I0+2+0+0+1], v[vgprValuA_X0_I0+4+0+0:vgprValuA_X0_I0+4+0+0+1], a[48:55]
/*  mfmaIndex:6  */
/* localReadsVacancy: latencyLeft 5 */
_ds_load_b64 v[vgprValuA_X2_I0+6:vgprValuA_X2_I0+6+1], v[vgprLocalReadAddrA] offset:4544 // L -> Reg lro=520 swapByteOffset=0 ti=16 vIdx=3 rIdx=0 oIdx=0 buffer=2 iui=0
_ds_load_b64 v[vgprValuB_X2_I0+2:vgprValuB_X2_I0+2+1], v[vgprLocalReadAddrB] offset:8704 // L -> Reg lro=1024 swapByteOffset=0 ti=64 vIdx=1 rIdx=0 oIdx=0 buffer=2 iui=0
v_mfma_f64_16x16x4_f64 a[40+0:47+0], v[vgprValuB_X0_I0+2+0+0:vgprValuB_X0_I0+2+0+0+1], v[vgprValuA_X0_I0+2+0+0:vgprValuA_X0_I0+2+0+0+1], a[40:47]
/*  mfmaIndex:7  */
/* localReadsVacancy: latencyLeft 5 */
_ds_load_b64 v[vgprValuA_X3_I0+0:vgprValuA_X3_I0+0+1], v[vgprLocalReadAddrA] offset:6240 // L -> Reg lro=780 swapByteOffset=0 ti=16 vIdx=0 rIdx=0 oIdx=0 buffer=3 iui=0
_ds_load_b64 v[vgprValuB_X3_I0+0:vgprValuB_X3_I0+0+1], v[vgprLocalReadAddrB] offset:12288 // L -> Reg lro=1536 swapByteOffset=0 ti=64 vIdx=0 rIdx=0 oIdx=0 buffer=3 iui=0
v_mfma_f64_16x16x4_f64 a[32+0:39+0], v[vgprValuB_X0_I0+2+0+0:vgprValuB_X0_I0+2+0+0+1], v[vgprValuA_X0_I0+0+0+0:vgprValuA_X0_I0+0+0+0+1], a[32:39]
/* numPrefetchIter=0 */
/* dataAtIterA=-1 numReadsIterA=1 skipReadsIterA=1 readsPerIterA=4 */
/* dataAtIterB=-1 numReadsIterB=1 skipReadsIterB=1 readsPerIterB=2 */


/* iter 1 (last unrolled loop) */

/*  grEndMfmaIndex:0, lwStartMfmaIndex:24, lwEndMfmaIndex:24  */
/*  numMfmaForLR:5, barrierMfmaIndex:26, LocalWritePerMfma:0.500 */
/*  mfmaIndex:8  */
/* localReadsVacancy: latencyLeft 5 */
_ds_load_b64 v[vgprValuA_X3_I0+2:vgprValuA_X3_I0+2+1], v[vgprLocalReadAddrA] offset:6368 // L -> Reg lro=780 swapByteOffset=0 ti=16 vIdx=1 rIdx=0 oIdx=0 buffer=3 iui=0
_ds_load_b64 v[vgprValuA_X3_I0+4:vgprValuA_X3_I0+4+1], v[vgprLocalReadAddrA] offset:6496 // L -> Reg lro=780 swapByteOffset=0 ti=16 vIdx=2 rIdx=0 oIdx=0 buffer=3 iui=0
s_waitcnt lgkmcnt(10)                              // lgkmcnt=0 vmcnt=-1wait for prior local read local write old=6, new=6 newLW=0 newLR=0
v_mfma_f64_16x16x4_f64 a[0+0:7+0], v[vgprValuB_X1_I0+0+0+0:vgprValuB_X1_I0+0+0+0+1], v[vgprValuA_X1_I0+0+0+0:vgprValuA_X1_I0+0+0+0+1], a[0:7]
/*  mfmaIndex:9  */
/* localReadsVacancy: latencyLeft 5 */
_ds_load_b64 v[vgprValuA_X3_I0+6:vgprValuA_X3_I0+6+1], v[vgprLocalReadAddrA] offset:6624 // L -> Reg lro=780 swapByteOffset=0 ti=16 vIdx=3 rIdx=0 oIdx=0 buffer=3 iui=0
_ds_load_b64 v[vgprValuB_X3_I0+2:vgprValuB_X3_I0+2+1], v[vgprLocalReadAddrB] offset:12800 // L -> Reg lro=1536 swapByteOffset=0 ti=64 vIdx=1 rIdx=0 oIdx=0 buffer=3 iui=0
v_mfma_f64_16x16x4_f64 a[8+0:15+0], v[vgprValuB_X1_I0+0+0+0:vgprValuB_X1_I0+0+0+0+1], v[vgprValuA_X1_I0+2+0+0:vgprValuA_X1_I0+2+0+0+1], a[8:15]
/*  mfmaIndex:10  */
/* localReadsVacancy: latencyLeft 5 */
v_mfma_f64_16x16x4_f64 a[16+0:23+0], v[vgprValuB_X1_I0+0+0+0:vgprValuB_X1_I0+0+0+0+1], v[vgprValuA_X1_I0+4+0+0:vgprValuA_X1_I0+4+0+0+1], a[16:23]
/*  mfmaIndex:11  */
/* localReadsVacancy: latencyLeft 5 */
	;; [unrolled: 3-line block ×6, first 2 shown]
v_mfma_f64_16x16x4_f64 a[32+0:39+0], v[vgprValuB_X1_I0+2+0+0:vgprValuB_X1_I0+2+0+0+1], v[vgprValuA_X1_I0+0+0+0:vgprValuA_X1_I0+0+0+0+1], a[32:39]
/* numPrefetchIter=0 */
/* dataAtIterA=0 numReadsIterA=2 skipReadsIterA=1 readsPerIterA=4 */
/* dataAtIterB=0 numReadsIterB=2 skipReadsIterB=1 readsPerIterB=2 */


/* iter 2 (last unrolled loop) */

/*  grEndMfmaIndex:0, lwStartMfmaIndex:24, lwEndMfmaIndex:24  */
/*  numMfmaForLR:5, barrierMfmaIndex:26, LocalWritePerMfma:0.500 */
/*  mfmaIndex:16  */
/* localReadsVacancy: latencyLeft 5 */
s_waitcnt lgkmcnt(4)                               // lgkmcnt=0 vmcnt=-1wait for prior local read local write old=4, new=4 newLW=0 newLR=0
v_mfma_f64_16x16x4_f64 a[0+0:7+0], v[vgprValuB_X2_I0+0+0+0:vgprValuB_X2_I0+0+0+0+1], v[vgprValuA_X2_I0+0+0+0:vgprValuA_X2_I0+0+0+0+1], a[0:7]
/*  mfmaIndex:17  */
/* localReadsVacancy: latencyLeft 5 */
v_mfma_f64_16x16x4_f64 a[8+0:15+0], v[vgprValuB_X2_I0+0+0+0:vgprValuB_X2_I0+0+0+0+1], v[vgprValuA_X2_I0+2+0+0:vgprValuA_X2_I0+2+0+0+1], a[8:15]
/*  mfmaIndex:18  */
/* localReadsVacancy: latencyLeft 5 */
	;; [unrolled: 3-line block ×7, first 2 shown]
/* 1 LDS buffer: read-sync-write */
s_waitcnt lgkmcnt(0)                               // 
s_barrier                                          // 
v_mfma_f64_16x16x4_f64 a[32+0:39+0], v[vgprValuB_X2_I0+2+0+0:vgprValuB_X2_I0+2+0+0+1], v[vgprValuA_X2_I0+0+0+0:vgprValuA_X2_I0+0+0+0+1], a[32:39]
/* numPrefetchIter=0 */
/* dataAtIterA=1 numReadsIterA=3 skipReadsIterA=1 readsPerIterA=4 */
/* dataAtIterB=1 numReadsIterB=3 skipReadsIterB=1 readsPerIterB=2 */


/* iter 3 (last unrolled loop) */

/*  grEndMfmaIndex:0, lwStartMfmaIndex:24, lwEndMfmaIndex:24  */
/*  numMfmaForLR:5, barrierMfmaIndex:26, LocalWritePerMfma:0.500 */
/*  mfmaIndex:24  */
s_setprio 3                                        // store optimization
s_waitcnt lgkmcnt(0)                               // lgkmcnt=0 vmcnt=-1wait for prior local read local write old=0, new=0 newLW=0 newLR=0
v_mfma_f64_16x16x4_f64 a[0+0:7+0], v[vgprValuB_X3_I0+0+0+0:vgprValuB_X3_I0+0+0+0+1], v[vgprValuA_X3_I0+0+0+0:vgprValuA_X3_I0+0+0+0+1], a[0:7]
/*  mfmaIndex:25  */
v_mfma_f64_16x16x4_f64 a[8+0:15+0], v[vgprValuB_X3_I0+0+0+0:vgprValuB_X3_I0+0+0+0+1], v[vgprValuA_X3_I0+2+0+0:vgprValuA_X3_I0+2+0+0+1], a[8:15]
s_setprio 0                                        // store optimization
/*  mfmaIndex:26  */
v_mfma_f64_16x16x4_f64 a[16+0:23+0], v[vgprValuB_X3_I0+0+0+0:vgprValuB_X3_I0+0+0+0+1], v[vgprValuA_X3_I0+4+0+0:vgprValuA_X3_I0+4+0+0+1], a[16:23]
/*  mfmaIndex:27  */
s_setprio 3                                        // store optimization
v_mfma_f64_16x16x4_f64 a[24+0:31+0], v[vgprValuB_X3_I0+0+0+0:vgprValuB_X3_I0+0+0+0+1], v[vgprValuA_X3_I0+6+0+0:vgprValuA_X3_I0+6+0+0+1], a[24:31]
/*  mfmaIndex:28  */
v_mfma_f64_16x16x4_f64 a[56+0:63+0], v[vgprValuB_X3_I0+2+0+0:vgprValuB_X3_I0+2+0+0+1], v[vgprValuA_X3_I0+6+0+0:vgprValuA_X3_I0+6+0+0+1], a[56:63]
/*  mfmaIndex:29  */
	;; [unrolled: 2-line block ×4, first 2 shown]
v_mfma_f64_16x16x4_f64 a[32+0:39+0], v[vgprValuB_X3_I0+2+0+0:vgprValuB_X3_I0+2+0+0+1], v[vgprValuA_X3_I0+0+0+0:vgprValuA_X3_I0+0+0+0+1], a[32:39]
/* numPrefetchIter=0 */
/* dataAtIterA=2 numReadsIterA=3 skipReadsIterA=0 readsPerIterA=4 */
/* dataAtIterB=2 numReadsIterB=3 skipReadsIterB=0 readsPerIterB=2 */

PrefetchGlobalLastIterEnd_5:


/******************************************/
/* Tail Loop                              */
/******************************************/


/* local write reset offsets a */


	;; [unrolled: 1-line block ×3, first 2 shown]
/* local write reset offsets b */


	;; [unrolled: 1-line block ×3, first 2 shown]
//numIterL = (((sizeL % LOCAL_DEPTHU) + LOCAL_SPLITU - 1) / LOCAL_SPLITU)
s_and_b32 s[sgprLoopCounterL], 15, s[sgprSizesSum+0] // s[sgprLoopCounterL] = s[sgprSizesSum+0] % 16
s_cmp_eq_u32 s[sgprLoopCounterL], 0x0              // numIterL == 0
s_cbranch_scc1 SkipTailLoopL_8                     // skip to end of tail loop b/c numIter==0
s_mov_b32 s[sgprOrigLoopCounter], 0                // repurpose to count each localRead increment


/* Update M0 for DTLDS */


	;; [unrolled: 1-line block ×3, first 2 shown]
/* global read a */

/* global addressing - max read address = Tensor2dSizeA */
s_mul_hi_u32 s1, s[sgprWorkGroup2], s[sgprStrideAK] // 64b tensorA size in elements
s_mul_i32 s0, s[sgprWorkGroup2], s[sgprStrideAK]   // 64b tensorA size in elements
s_add_u32 s0, s[sgprTensor2dSizeA], s0             // add Tensor2dSizeA
s_addc_u32 s1, s[sgprTensor2dSizeA+1], s1          // add Tensor2dSizeA
s_lshl_b64 s[0:1], s[0:1], 0x3                     // <- tensorA size in bytes
s_add_u32 s0, s16, s0                              // prepend address lower
s_addc_u32 s1, s17, s1                             // prepend address upper
v_mov_b32 v94, s0                                  // sgpr->vgpr
v_mov_b32 v95, s1                                  // sgpr->vgpr
s_mov_b64 s[0:1], 0xFFFFFFFFFFFFFFFF               // to restore all threads active
v_mov_b32 v93, 0x8                                 // bpe*numElementsPerLoad
v_mov_b32 v96, 0x0                                 // zero
/* g2l=0, load component 0 */
_v_cmpx_lt_u64 vcc, v[vgprGlobalReadAddrA+0:vgprGlobalReadAddrA+0+1], v[94:95] // addr < maxAddr
_global_load_b64 v[vgprG2LA+0+0:vgprG2LA+0+0+1], v[vgprGlobalReadAddrA+0:vgprGlobalReadAddrA+0+1], off, offset:0 // load one global value
s_or_saveexec_b64 vcc, s[0:1]                      // all threads active
_v_add_co_u32 v[vgprGlobalReadAddrA+0+0], vcc, v[vgprGlobalReadAddrA+0+0], v93 // gra += 1 (lower)
_v_addc_co_u32 v[vgprGlobalReadAddrA+0+1], vcc, v[vgprGlobalReadAddrA+0+1], v96, vcc // gra += 1 (upper)
/* g2l=0, load component 1 */
_v_cmpx_lt_u64 vcc, v[vgprGlobalReadAddrA+0:vgprGlobalReadAddrA+0+1], v[94:95] // addr < maxAddr
_global_load_b64 v[vgprG2LA+0+2:vgprG2LA+0+2+1], v[vgprGlobalReadAddrA+0:vgprGlobalReadAddrA+0+1], off, offset:0 // load one global value
s_or_saveexec_b64 vcc, s[0:1]                      // all threads active
_v_add_co_u32 v[vgprGlobalReadAddrA+0+0], vcc, v[vgprGlobalReadAddrA+0+0], v93 // gra += 1 (lower)
_v_addc_co_u32 v[vgprGlobalReadAddrA+0+1], vcc, v[vgprGlobalReadAddrA+0+1], v96, vcc // gra += 1 (upper)
	;; [unrolled: 6-line block ×4, first 2 shown]


/* Update M0 for DTLDS */


	;; [unrolled: 1-line block ×3, first 2 shown]
/* global read b */

/* global addressing - max read address = Tensor2dSizeB */
s_mul_hi_u32 s1, s[sgprWorkGroup2], s[sgprStrideBK] // 64b tensorB size in elements
s_mul_i32 s0, s[sgprWorkGroup2], s[sgprStrideBK]   // 64b tensorB size in elements
s_add_u32 s0, s[sgprTensor2dSizeB], s0             // add Tensor2dSizeB
s_addc_u32 s1, s[sgprTensor2dSizeB+1], s1          // add Tensor2dSizeB
s_lshl_b64 s[0:1], s[0:1], 0x3                     // <- tensorB size in bytes
s_add_u32 s0, s18, s0                              // prepend address lower
s_addc_u32 s1, s19, s1                             // prepend address upper
v_mov_b32 v94, s0                                  // sgpr->vgpr
v_mov_b32 v95, s1                                  // sgpr->vgpr
s_mov_b64 s[0:1], 0xFFFFFFFFFFFFFFFF               // to restore all threads active
v_mov_b32 v93, 0x8                                 // bpe*numElementsPerLoad
v_mov_b32 v96, 0x0                                 // zero
/* g2l=0, load component 0 */
_v_cmpx_lt_u64 vcc, v[vgprGlobalReadAddrB+0:vgprGlobalReadAddrB+0+1], v[94:95] // addr < maxAddr
_global_load_b64 v[vgprG2LB+0+0:vgprG2LB+0+0+1], v[vgprGlobalReadAddrB+0:vgprGlobalReadAddrB+0+1], off, offset:0 // load one global value
s_or_saveexec_b64 vcc, s[0:1]                      // all threads active
_v_add_co_u32 v[vgprGlobalReadAddrB+0+0], vcc, v[vgprGlobalReadAddrB+0+0], v93 // gra += 1 (lower)
_v_addc_co_u32 v[vgprGlobalReadAddrB+0+1], vcc, v[vgprGlobalReadAddrB+0+1], v96, vcc // gra += 1 (upper)
/* g2l=0, load component 1 */
_v_cmpx_lt_u64 vcc, v[vgprGlobalReadAddrB+0:vgprGlobalReadAddrB+0+1], v[94:95] // addr < maxAddr
_global_load_b64 v[vgprG2LB+0+2:vgprG2LB+0+2+1], v[vgprGlobalReadAddrB+0:vgprGlobalReadAddrB+0+1], off, offset:0 // load one global value
s_or_saveexec_b64 vcc, s[0:1]                      // all threads active
_v_add_co_u32 v[vgprGlobalReadAddrB+0+0], vcc, v[vgprGlobalReadAddrB+0+0], v93 // gra += 1 (lower)
_v_addc_co_u32 v[vgprGlobalReadAddrB+0+1], vcc, v[vgprGlobalReadAddrB+0+1], v96, vcc // gra += 1 (upper)
	;; [unrolled: 6-line block ×8, first 2 shown]

s_waitcnt vmcnt(0)                                 // lgkmcnt=-1 vmcnt=02wait for global read

// Skip force waitcnt0
s_barrier //


/* Done global A/B reads */


	;; [unrolled: 1-line block ×4, first 2 shown]
/* local write a */

_ds_store_b64 v[vgprLocalWriteAddrA], v[vgprG2LA+0:vgprG2LA+0+1] offset:0 // lwoA_0_0_0_0 = (0 + 0*LSCA)*(MT0I+PAD) + (0*LSPA) = 0
_ds_store_b64 v[vgprLocalWriteAddrA], v[vgprG2LA+2:vgprG2LA+2+1] offset:520 // lwoA_0_1_0_0 = (1 + 0*LSCA)*(MT0I+PAD) + (0*LSPA) = 520
_ds_store_b64 v[vgprLocalWriteAddrA], v[vgprG2LA+4:vgprG2LA+4+1] offset:256 // lwoA_0_0_1_0 = (0 + 0*LSCA)*(MT0I+PAD) + (1*LSPA) = 256
_ds_store_b64 v[vgprLocalWriteAddrA], v[vgprG2LA+6:vgprG2LA+6+1] offset:776 // lwoA_0_1_1_0 = (1 + 0*LSCA)*(MT0I+PAD) + (1*LSPA) = 776


/* local write b */

_ds_store_b128 v[vgprLocalWriteAddrB], v[vgprG2LB+0:vgprG2LB+0+3] offset:0 // lwoB_0_0_0_0 = (0*LSCB) + (0*LSPB)(*MT1J+PAD) = 0
_ds_store_b128 v[vgprLocalWriteAddrB], v[vgprG2LB+4:vgprG2LB+4+3] offset:4096 // lwoB_0_0_1_0 = (0*LSCB) + (1*LSPB)(*MT1J+PAD) = 4096
_ds_store_b128 v[vgprLocalWriteAddrB], v[vgprG2LB+8:vgprG2LB+8+3] offset:8192 // lwoB_0_0_2_0 = (0*LSCB) + (2*LSPB)(*MT1J+PAD) = 8192
_ds_store_b128 v[vgprLocalWriteAddrB], v[vgprG2LB+12:vgprG2LB+12+3] offset:12288 // lwoB_0_0_3_0 = (0*LSCB) + (3*LSPB)(*MT1J+PAD) = 12288


/* Recalc local read offsets */


s_waitcnt lgkmcnt(0)                               // lgkmcnt=0 vmcnt=-15wait for local write

// Skip force waitcnt0
s_barrier //


/* local read reset offsets a */


	;; [unrolled: 1-line block ×3, first 2 shown]
/* local read reset offsets b */


	;; [unrolled: 1-line block ×3, first 2 shown]
/* local read init pointers a */


/* localReadInitPointers */


/* local read init pointers b */


/* localReadInitPointers */


/* tail loop: macs */

TailLoopBeginL_6:


/* local read a */

_ds_load_b64 v[vgprValuA_X0_I0+0:vgprValuA_X0_I0+0+1], v[vgprLocalReadAddrA] offset:0 // L -> Reg lro=0 swapByteOffset=0 ti=16 vIdx=0 rIdx=0 oIdx=0 buffer=0 iui=0
_ds_load_b64 v[vgprValuA_X0_I0+2:vgprValuA_X0_I0+2+1], v[vgprLocalReadAddrA] offset:128 // L -> Reg lro=0 swapByteOffset=0 ti=16 vIdx=1 rIdx=0 oIdx=0 buffer=0 iui=0
	;; [unrolled: 1-line block ×4, first 2 shown]


/* local read b */

_ds_load_b64 v[vgprValuB_X0_I0+0:vgprValuB_X0_I0+0+1], v[vgprLocalReadAddrB] offset:0 // L -> Reg lro=0 swapByteOffset=0 ti=64 vIdx=0 rIdx=0 oIdx=0 buffer=0 iui=0
_ds_load_b64 v[vgprValuB_X0_I0+2:vgprValuB_X0_I0+2+1], v[vgprLocalReadAddrB] offset:512 // L -> Reg lro=0 swapByteOffset=0 ti=64 vIdx=1 rIdx=0 oIdx=0 buffer=0 iui=0


/* local read inc a */

s_mov_b32 s0, 0x820                                // inc
_v_add_co_u32 v[vgprLocalReadAddrA], vcc, s0, v[vgprLocalReadAddrA] // lrA += 2080 (LSU*(MT+PAD)*bpe)


/* local read inc b */

s_mov_b32 s0, 0x1000                               // inc
_v_add_co_u32 v[vgprLocalReadAddrB], vcc, s0, v[vgprLocalReadAddrB] // lrB += 4096 (LSU*(MT+PAD)*bpe)

s_waitcnt lgkmcnt(0)                               // lgkmcnt=0 vmcnt=-14wait for local read


	;; [unrolled: 1-line block ×3, first 2 shown]
/* tail loop mfma iter 0: numReadsIterCoalescedA=1, numReadsIterCoalescedB=1 */
v_and_b32 v93, 63, v[vgprSerial]                   // v93 = v[vgprSerial] % 64
v_lshrrev_b32 v93, 4, v93                          // v93 = v93 / 16
                                                   // v93 = v93 * 1 (multiplier is 1, do nothing)
v_cmp_ge_i32 s[42:43], v93, s[sgprLoopCounterL]    // check K index >= Size L
v_cndmask_b32 v[vgprValuA_X0_I0+0+0+0+0], v[vgprValuA_X0_I0+0+0+0+0], 0x0, s[42:43] // set 0 if K_idx >= sizeL
v_cndmask_b32 v[vgprValuA_X0_I0+2+0+0+0], v[vgprValuA_X0_I0+2+0+0+0], 0x0, s[42:43] // set 0 if K_idx >= sizeL
	;; [unrolled: 1-line block ×4, first 2 shown]
v_cndmask_b32 v[vgprValuB_X0_I0+0+0+0+0], v[vgprValuB_X0_I0+0+0+0+0], 0x0, s[42:43] // set 0 if K_idx >= sizeL
v_cndmask_b32 v[vgprValuB_X0_I0+2+0+0+0], v[vgprValuB_X0_I0+2+0+0+0], 0x0, s[42:43] // set 0 if K_idx >= sizeL
v_cndmask_b32 v[vgprValuA_X0_I0+0+0+0+1], v[vgprValuA_X0_I0+0+0+0+1], 0x0, s[42:43] // set 0 if K_idx >= sizeL
v_cndmask_b32 v[vgprValuA_X0_I0+2+0+0+1], v[vgprValuA_X0_I0+2+0+0+1], 0x0, s[42:43] // set 0 if K_idx >= sizeL
	;; [unrolled: 1-line block ×4, first 2 shown]
v_cndmask_b32 v[vgprValuB_X0_I0+0+0+0+1], v[vgprValuB_X0_I0+0+0+0+1], 0x0, s[42:43] // set 0 if K_idx >= sizeL
v_cndmask_b32 v[vgprValuB_X0_I0+2+0+0+1], v[vgprValuB_X0_I0+2+0+0+1], 0x0, s[42:43] // set 0 if K_idx >= sizeL
s_nop 1
v_mfma_f64_16x16x4_f64 a[0+0:7+0], v[vgprValuB_X0_I0+0+0+0:vgprValuB_X0_I0+0+0+0+1], v[vgprValuA_X0_I0+0+0+0:vgprValuA_X0_I0+0+0+0+1], a[0:7]
v_mfma_f64_16x16x4_f64 a[8+0:15+0], v[vgprValuB_X0_I0+0+0+0:vgprValuB_X0_I0+0+0+0+1], v[vgprValuA_X0_I0+2+0+0:vgprValuA_X0_I0+2+0+0+1], a[8:15]
	;; [unrolled: 1-line block ×8, first 2 shown]


/* closeLoop loopL finalLoop=1 tailLoop=1 */
s_sub_i32 s[sgprLoopCounterL], s[sgprLoopCounterL], 0x4 // dec counterL (tailLoop)
s_add_u32 s[sgprOrigLoopCounter], s[sgprOrigLoopCounter], 0x4 // inc counterL
s_cmp_le_i32 s[sgprLoopCounterL], 0x0              // counterL<=0
s_cbranch_scc0 TailLoopBeginL_6                    // restart LoopL
TailLoopEndL_7:

SkipTailLoopL_8:

Summation_End_18:
s_setprio 0                                        // optimization store
/* endSummation: add vgpr [0...90) to pool */
.set NumFullBlocks, UNDEF
.set WgmRemainder1, UNDEF
.set MagicNumberWgmRemainder1, UNDEF

/* Mapping of Acc register -> C Vgpr register */


/* shift vector components d1 */

v_mov_b32 v1, s[sgprWorkGroup1]                    // 
v_mul_i32_i24 v1, -0x80, v1                        // wg*MT
_v_add_co_u32 v1, vcc, s[sgprSizesFree+1], v1      // wgMT = Size - wg*MT
v_mov_b32 v2, 0x80                                 // MT
v_min_u32 v1, v2, v1                               // wgMT = (wgMT < MT) ? wgMT : MT
v_lshrrev_b32 v0, 6, v[vgprSerial]                 // v0 = v[vgprSerial] / 64
v_and_b32 v3, 3, v0                                // v3 = v0 % 4
v_lshrrev_b32 v0, 4, v1                            // v0 = v1 / 16
v_and_b32 v4, 3, v0                                // v4 = v0 % 4
v_cmp_eq_u32 s[0:1], v4, v3                        // wave_id == block_belong_to_wave?
v_cndmask_b32 v1, v2, v1, s[0:1]                   // wgMT = (wgMT < MT) ? wgMT : MT

/* mbReg: which mb block need to shift, mb(matrixInstCoal(16) * VectorWidth(1)) */
v_lshrrev_b32 v2, 2, v1                            // v2 = v1 / 4
v_lshlrev_b32 v4, 0x2, v3                          // v4 = v3 * 4
_v_sub_u32 v2, v2, v4                              // 

/* gbReg: glvw block id */
v_lshrrev_b32 v4, 1, v1                            // v4 = v1 / 2

/* tgbReg: glvw block id */
v_lshrrev_b32 v0, 4, v[vgprSerial]                 // v0 = v[vgprSerial] / 16
v_and_b32 v5, 3, v0                                // v5 = v0 % 4
                                                   // v5 = v5 * 1 (multiplier is 1, do nothing)
v_lshrrev_b32 v5, 1, v5                            // v5 = v5 / 2
v_lshlrev_b32 v3, 0x3, v3                          // v3 = v3 * 8
_v_add_co_u32 v5, vcc, v3, v5                      // tgbReg = (tid_coal * continOut) / GLVW
_v_sub_u32 v4, v4, v5                              // 

/* vwReg: glvw in which vw block? */
v_and_b32 v3, 0, v1                                // permute register between threads
v_lshrrev_b32 v3, 1, v3                            // permute register between threads

/* rReg : reminder of M_size % GlobalLoadVectorWidth */
v_and_b32 v5, 1, v1                                // v5 = v1 % 2
v_cmp_eq_u32 vcc, v5, 0x1                          // wgMT%VW == 1
s_cbranch_vccnz label_0019                         // branch to shift d1 r=1
s_branch label_0036                                // no shifting

/******************************************/
/* shift d1 r=1                           */
/******************************************/
label_0019:
v_cmp_eq_u32 vcc, v2, 0x0                          // 
s_cbranch_vccnz label_0020                         // branch to shift d1 r1 mb0
v_cmp_eq_u32 vcc, v2, 0x1                          // 
s_cbranch_vccnz label_0022                         // branch to shift d1 r1 mb1
v_cmp_eq_u32 vcc, v2, 0x2                          // 
s_cbranch_vccnz label_0024                         // branch to shift d1 r1 mb2
v_cmp_eq_u32 vcc, v2, 0x3                          // 
s_cbranch_vccnz label_0026                         // branch to shift d1 r1 mb3
v_cmp_eq_u32 vcc, v2, 0x10                         // 
s_cbranch_vccnz label_0028                         // branch to shift d1 r1 mb4
v_cmp_eq_u32 vcc, v2, 0x11                         // 
s_cbranch_vccnz label_0030                         // branch to shift d1 r1 mb5
v_cmp_eq_u32 vcc, v2, 0x12                         // 
s_cbranch_vccnz label_0032                         // branch to shift d1 r1 mb6
v_cmp_eq_u32 vcc, v2, 0x13                         // 
s_cbranch_vccnz label_0034                         // branch to shift d1 r1 mb7

/******************************************/
/* shift d1 r=1 mb=0                      */
/******************************************/
label_0020: // r1 mb0 
v_cmp_eq_u32 vcc, v3, 0x0                          // 
s_cbranch_vccnz label_0021                         // branch to shift d1 r1 mb0 vw0

/******************************************/
/* shift d1 r=1 mb=1                      */
/******************************************/
label_0022: // r1 mb1 
v_cmp_eq_u32 vcc, v3, 0x0                          // 
s_cbranch_vccnz label_0023                         // branch to shift d1 r1 mb1 vw0

/******************************************/
/* shift d1 r=1 mb=2                      */
/******************************************/
label_0024: // r1 mb2 
v_cmp_eq_u32 vcc, v3, 0x0                          // 
s_cbranch_vccnz label_0025                         // branch to shift d1 r1 mb2 vw0

/******************************************/
/* shift d1 r=1 mb=3                      */
/******************************************/
label_0026: // r1 mb3 
v_cmp_eq_u32 vcc, v3, 0x0                          // 
s_cbranch_vccnz label_0027                         // branch to shift d1 r1 mb3 vw0

/******************************************/
/* shift d1 r=1 mb=4                      */
/******************************************/
label_0028: // r1 mb4 
v_cmp_eq_u32 vcc, v3, 0x0                          // 
s_cbranch_vccnz label_0029                         // branch to shift d1 r1 mb4 vw0

/******************************************/
/* shift d1 r=1 mb=5                      */
/******************************************/
label_0030: // r1 mb5 
v_cmp_eq_u32 vcc, v3, 0x0                          // 
s_cbranch_vccnz label_0031                         // branch to shift d1 r1 mb5 vw0

/******************************************/
/* shift d1 r=1 mb=6                      */
/******************************************/
label_0032: // r1 mb6 
v_cmp_eq_u32 vcc, v3, 0x0                          // 
s_cbranch_vccnz label_0033                         // branch to shift d1 r1 mb6 vw0

/******************************************/
/* shift d1 r=1 mb=7                      */
/******************************************/
label_0034: // r1 mb7 
v_cmp_eq_u32 vcc, v3, 0x0                          // 
s_cbranch_vccnz label_0035                         // branch to shift d1 r1 mb7 vw0

/******************************************/
/* shift d1 r=1 mb=0 vw0                  */
/******************************************/
label_0021: // r1 mb0 vw0 
s_mov_b32 s0, 0                                    // 
_v_cmpx_eq_u32 s[0:1], v4, s0                      // is thread in edge glvw region
v_and_b32 v0, 63, v[vgprSerial]                    // permute register between threads
v_lshlrev_b32 v0, 2, v0                            // permute register between threads
v_accvgpr_read_b32 v5, acc0                        // glvw 1 mb 0 tt1 0 r 0
s_nop 1                                            // v_accvgpr read vgpr after write vgpr: 2 wait states
ds_bpermute_b32 v5, v0, v5, offset:64              // permute edge values
s_waitcnt 0                                        // wait for swizzle operation
v_accvgpr_write_b32 acc0, v5                       // 
v_accvgpr_read_b32 v5, acc1                        // glvw 1 mb 0 tt1 0 r 1
s_nop 1                                            // v_accvgpr read vgpr after write vgpr: 2 wait states
ds_bpermute_b32 v5, v0, v5, offset:64              // permute edge values
s_waitcnt 0                                        // wait for swizzle operation
v_accvgpr_write_b32 acc1, v5                       // 
v_accvgpr_read_b32 v5, acc8                        // glvw 1 mb 0 tt1 1 r 0
s_nop 1                                            // v_accvgpr read vgpr after write vgpr: 2 wait states
ds_bpermute_b32 v5, v0, v5, offset:64              // permute edge values
s_waitcnt 0                                        // wait for swizzle operation
v_accvgpr_write_b32 acc8, v5                       // 
v_accvgpr_read_b32 v5, acc9                        // glvw 1 mb 0 tt1 1 r 1
s_nop 1                                            // v_accvgpr read vgpr after write vgpr: 2 wait states
ds_bpermute_b32 v5, v0, v5, offset:64              // permute edge values
s_waitcnt 0                                        // wait for swizzle operation
v_accvgpr_write_b32 acc9, v5                       // 
v_accvgpr_read_b32 v5, acc16                       // glvw 1 mb 0 tt1 2 r 0
s_nop 1                                            // v_accvgpr read vgpr after write vgpr: 2 wait states
ds_bpermute_b32 v5, v0, v5, offset:64              // permute edge values
s_waitcnt 0                                        // wait for swizzle operation
v_accvgpr_write_b32 acc16, v5                      // 
v_accvgpr_read_b32 v5, acc17                       // glvw 1 mb 0 tt1 2 r 1
s_nop 1                                            // v_accvgpr read vgpr after write vgpr: 2 wait states
ds_bpermute_b32 v5, v0, v5, offset:64              // permute edge values
s_waitcnt 0                                        // wait for swizzle operation
v_accvgpr_write_b32 acc17, v5                      // 
v_accvgpr_read_b32 v5, acc24                       // glvw 1 mb 0 tt1 3 r 0
s_nop 1                                            // v_accvgpr read vgpr after write vgpr: 2 wait states
ds_bpermute_b32 v5, v0, v5, offset:64              // permute edge values
s_waitcnt 0                                        // wait for swizzle operation
v_accvgpr_write_b32 acc24, v5                      // 
v_accvgpr_read_b32 v5, acc25                       // glvw 1 mb 0 tt1 3 r 1
s_nop 1                                            // v_accvgpr read vgpr after write vgpr: 2 wait states
ds_bpermute_b32 v5, v0, v5, offset:64              // permute edge values
s_waitcnt 0                                        // wait for swizzle operation
v_accvgpr_write_b32 acc25, v5                      // 
s_mov_b64 s[0:1], 0xFFFFFFFFFFFFFFFF               // to restore all threads active
s_or_saveexec_b64 vcc, s[0:1]                      // all threads active
s_branch label_0036                                // done shifting


/******************************************/
/* shift d1 r=1 mb=1 vw0                  */
/******************************************/
label_0023: // r1 mb1 vw0 
s_mov_b32 s0, 2                                    // 
_v_cmpx_eq_u32 s[0:1], v4, s0                      // is thread in edge glvw region
v_and_b32 v0, 63, v[vgprSerial]                    // permute register between threads
v_lshlrev_b32 v0, 2, v0                            // permute register between threads
v_accvgpr_read_b32 v5, acc2                        // glvw 1 mb 1 tt1 0 r 0
s_nop 1                                            // v_accvgpr read vgpr after write vgpr: 2 wait states
ds_bpermute_b32 v5, v0, v5, offset:64              // permute edge values
s_waitcnt 0                                        // wait for swizzle operation
v_accvgpr_write_b32 acc2, v5                       // 
v_accvgpr_read_b32 v5, acc3                        // glvw 1 mb 1 tt1 0 r 1
s_nop 1                                            // v_accvgpr read vgpr after write vgpr: 2 wait states
ds_bpermute_b32 v5, v0, v5, offset:64              // permute edge values
s_waitcnt 0                                        // wait for swizzle operation
v_accvgpr_write_b32 acc3, v5                       // 
v_accvgpr_read_b32 v5, acc10                       // glvw 1 mb 1 tt1 1 r 0
s_nop 1                                            // v_accvgpr read vgpr after write vgpr: 2 wait states
ds_bpermute_b32 v5, v0, v5, offset:64              // permute edge values
s_waitcnt 0                                        // wait for swizzle operation
v_accvgpr_write_b32 acc10, v5                      // 
v_accvgpr_read_b32 v5, acc11                       // glvw 1 mb 1 tt1 1 r 1
s_nop 1                                            // v_accvgpr read vgpr after write vgpr: 2 wait states
ds_bpermute_b32 v5, v0, v5, offset:64              // permute edge values
s_waitcnt 0                                        // wait for swizzle operation
v_accvgpr_write_b32 acc11, v5                      // 
v_accvgpr_read_b32 v5, acc18                       // glvw 1 mb 1 tt1 2 r 0
s_nop 1                                            // v_accvgpr read vgpr after write vgpr: 2 wait states
ds_bpermute_b32 v5, v0, v5, offset:64              // permute edge values
s_waitcnt 0                                        // wait for swizzle operation
v_accvgpr_write_b32 acc18, v5                      // 
v_accvgpr_read_b32 v5, acc19                       // glvw 1 mb 1 tt1 2 r 1
s_nop 1                                            // v_accvgpr read vgpr after write vgpr: 2 wait states
ds_bpermute_b32 v5, v0, v5, offset:64              // permute edge values
s_waitcnt 0                                        // wait for swizzle operation
v_accvgpr_write_b32 acc19, v5                      // 
v_accvgpr_read_b32 v5, acc26                       // glvw 1 mb 1 tt1 3 r 0
s_nop 1                                            // v_accvgpr read vgpr after write vgpr: 2 wait states
ds_bpermute_b32 v5, v0, v5, offset:64              // permute edge values
s_waitcnt 0                                        // wait for swizzle operation
v_accvgpr_write_b32 acc26, v5                      // 
v_accvgpr_read_b32 v5, acc27                       // glvw 1 mb 1 tt1 3 r 1
s_nop 1                                            // v_accvgpr read vgpr after write vgpr: 2 wait states
ds_bpermute_b32 v5, v0, v5, offset:64              // permute edge values
s_waitcnt 0                                        // wait for swizzle operation
v_accvgpr_write_b32 acc27, v5                      // 
s_mov_b64 s[0:1], 0xFFFFFFFFFFFFFFFF               // to restore all threads active
s_or_saveexec_b64 vcc, s[0:1]                      // all threads active
s_branch label_0036                                // done shifting


/******************************************/
/* shift d1 r=1 mb=2 vw0                  */
/******************************************/
label_0025: // r1 mb2 vw0 
s_mov_b32 s0, 4                                    // 
_v_cmpx_eq_u32 s[0:1], v4, s0                      // is thread in edge glvw region
v_and_b32 v0, 63, v[vgprSerial]                    // permute register between threads
v_lshlrev_b32 v0, 2, v0                            // permute register between threads
v_accvgpr_read_b32 v5, acc4                        // glvw 1 mb 2 tt1 0 r 0
s_nop 1                                            // v_accvgpr read vgpr after write vgpr: 2 wait states
ds_bpermute_b32 v5, v0, v5, offset:64              // permute edge values
s_waitcnt 0                                        // wait for swizzle operation
v_accvgpr_write_b32 acc4, v5                       // 
v_accvgpr_read_b32 v5, acc5                        // glvw 1 mb 2 tt1 0 r 1
s_nop 1                                            // v_accvgpr read vgpr after write vgpr: 2 wait states
ds_bpermute_b32 v5, v0, v5, offset:64              // permute edge values
s_waitcnt 0                                        // wait for swizzle operation
v_accvgpr_write_b32 acc5, v5                       // 
v_accvgpr_read_b32 v5, acc12                       // glvw 1 mb 2 tt1 1 r 0
s_nop 1                                            // v_accvgpr read vgpr after write vgpr: 2 wait states
ds_bpermute_b32 v5, v0, v5, offset:64              // permute edge values
s_waitcnt 0                                        // wait for swizzle operation
v_accvgpr_write_b32 acc12, v5                      // 
v_accvgpr_read_b32 v5, acc13                       // glvw 1 mb 2 tt1 1 r 1
s_nop 1                                            // v_accvgpr read vgpr after write vgpr: 2 wait states
ds_bpermute_b32 v5, v0, v5, offset:64              // permute edge values
s_waitcnt 0                                        // wait for swizzle operation
v_accvgpr_write_b32 acc13, v5                      // 
v_accvgpr_read_b32 v5, acc20                       // glvw 1 mb 2 tt1 2 r 0
s_nop 1                                            // v_accvgpr read vgpr after write vgpr: 2 wait states
ds_bpermute_b32 v5, v0, v5, offset:64              // permute edge values
s_waitcnt 0                                        // wait for swizzle operation
v_accvgpr_write_b32 acc20, v5                      // 
v_accvgpr_read_b32 v5, acc21                       // glvw 1 mb 2 tt1 2 r 1
s_nop 1                                            // v_accvgpr read vgpr after write vgpr: 2 wait states
ds_bpermute_b32 v5, v0, v5, offset:64              // permute edge values
s_waitcnt 0                                        // wait for swizzle operation
v_accvgpr_write_b32 acc21, v5                      // 
v_accvgpr_read_b32 v5, acc28                       // glvw 1 mb 2 tt1 3 r 0
s_nop 1                                            // v_accvgpr read vgpr after write vgpr: 2 wait states
ds_bpermute_b32 v5, v0, v5, offset:64              // permute edge values
s_waitcnt 0                                        // wait for swizzle operation
v_accvgpr_write_b32 acc28, v5                      // 
v_accvgpr_read_b32 v5, acc29                       // glvw 1 mb 2 tt1 3 r 1
s_nop 1                                            // v_accvgpr read vgpr after write vgpr: 2 wait states
ds_bpermute_b32 v5, v0, v5, offset:64              // permute edge values
s_waitcnt 0                                        // wait for swizzle operation
v_accvgpr_write_b32 acc29, v5                      // 
s_mov_b64 s[0:1], 0xFFFFFFFFFFFFFFFF               // to restore all threads active
s_or_saveexec_b64 vcc, s[0:1]                      // all threads active
s_branch label_0036                                // done shifting


/******************************************/
/* shift d1 r=1 mb=3 vw0                  */
/******************************************/
label_0027: // r1 mb3 vw0 
s_mov_b32 s0, 6                                    // 
_v_cmpx_eq_u32 s[0:1], v4, s0                      // is thread in edge glvw region
v_and_b32 v0, 63, v[vgprSerial]                    // permute register between threads
v_lshlrev_b32 v0, 2, v0                            // permute register between threads
v_accvgpr_read_b32 v5, acc6                        // glvw 1 mb 3 tt1 0 r 0
s_nop 1                                            // v_accvgpr read vgpr after write vgpr: 2 wait states
ds_bpermute_b32 v5, v0, v5, offset:64              // permute edge values
s_waitcnt 0                                        // wait for swizzle operation
v_accvgpr_write_b32 acc6, v5                       // 
v_accvgpr_read_b32 v5, acc7                        // glvw 1 mb 3 tt1 0 r 1
s_nop 1                                            // v_accvgpr read vgpr after write vgpr: 2 wait states
ds_bpermute_b32 v5, v0, v5, offset:64              // permute edge values
s_waitcnt 0                                        // wait for swizzle operation
v_accvgpr_write_b32 acc7, v5                       // 
v_accvgpr_read_b32 v5, acc14                       // glvw 1 mb 3 tt1 1 r 0
s_nop 1                                            // v_accvgpr read vgpr after write vgpr: 2 wait states
ds_bpermute_b32 v5, v0, v5, offset:64              // permute edge values
s_waitcnt 0                                        // wait for swizzle operation
v_accvgpr_write_b32 acc14, v5                      // 
v_accvgpr_read_b32 v5, acc15                       // glvw 1 mb 3 tt1 1 r 1
s_nop 1                                            // v_accvgpr read vgpr after write vgpr: 2 wait states
ds_bpermute_b32 v5, v0, v5, offset:64              // permute edge values
s_waitcnt 0                                        // wait for swizzle operation
v_accvgpr_write_b32 acc15, v5                      // 
v_accvgpr_read_b32 v5, acc22                       // glvw 1 mb 3 tt1 2 r 0
s_nop 1                                            // v_accvgpr read vgpr after write vgpr: 2 wait states
ds_bpermute_b32 v5, v0, v5, offset:64              // permute edge values
s_waitcnt 0                                        // wait for swizzle operation
v_accvgpr_write_b32 acc22, v5                      // 
v_accvgpr_read_b32 v5, acc23                       // glvw 1 mb 3 tt1 2 r 1
s_nop 1                                            // v_accvgpr read vgpr after write vgpr: 2 wait states
ds_bpermute_b32 v5, v0, v5, offset:64              // permute edge values
s_waitcnt 0                                        // wait for swizzle operation
v_accvgpr_write_b32 acc23, v5                      // 
v_accvgpr_read_b32 v5, acc30                       // glvw 1 mb 3 tt1 3 r 0
s_nop 1                                            // v_accvgpr read vgpr after write vgpr: 2 wait states
ds_bpermute_b32 v5, v0, v5, offset:64              // permute edge values
s_waitcnt 0                                        // wait for swizzle operation
v_accvgpr_write_b32 acc30, v5                      // 
v_accvgpr_read_b32 v5, acc31                       // glvw 1 mb 3 tt1 3 r 1
s_nop 1                                            // v_accvgpr read vgpr after write vgpr: 2 wait states
ds_bpermute_b32 v5, v0, v5, offset:64              // permute edge values
s_waitcnt 0                                        // wait for swizzle operation
v_accvgpr_write_b32 acc31, v5                      // 
s_mov_b64 s[0:1], 0xFFFFFFFFFFFFFFFF               // to restore all threads active
s_or_saveexec_b64 vcc, s[0:1]                      // all threads active
s_branch label_0036                                // done shifting


/******************************************/
/* shift d1 r=1 mb=4 vw0                  */
/******************************************/
label_0029: // r1 mb4 vw0 
s_mov_b32 s0, 32                                   // 
_v_cmpx_eq_u32 s[0:1], v4, s0                      // is thread in edge glvw region
v_and_b32 v0, 63, v[vgprSerial]                    // permute register between threads
v_lshlrev_b32 v0, 2, v0                            // permute register between threads
v_accvgpr_read_b32 v5, acc32                       // glvw 1 mb 4 tt1 0 r 0
s_nop 1                                            // v_accvgpr read vgpr after write vgpr: 2 wait states
ds_bpermute_b32 v5, v0, v5, offset:64              // permute edge values
s_waitcnt 0                                        // wait for swizzle operation
v_accvgpr_write_b32 acc32, v5                      // 
v_accvgpr_read_b32 v5, acc33                       // glvw 1 mb 4 tt1 0 r 1
s_nop 1                                            // v_accvgpr read vgpr after write vgpr: 2 wait states
ds_bpermute_b32 v5, v0, v5, offset:64              // permute edge values
s_waitcnt 0                                        // wait for swizzle operation
v_accvgpr_write_b32 acc33, v5                      // 
v_accvgpr_read_b32 v5, acc40                       // glvw 1 mb 4 tt1 1 r 0
s_nop 1                                            // v_accvgpr read vgpr after write vgpr: 2 wait states
ds_bpermute_b32 v5, v0, v5, offset:64              // permute edge values
s_waitcnt 0                                        // wait for swizzle operation
v_accvgpr_write_b32 acc40, v5                      // 
v_accvgpr_read_b32 v5, acc41                       // glvw 1 mb 4 tt1 1 r 1
s_nop 1                                            // v_accvgpr read vgpr after write vgpr: 2 wait states
ds_bpermute_b32 v5, v0, v5, offset:64              // permute edge values
s_waitcnt 0                                        // wait for swizzle operation
v_accvgpr_write_b32 acc41, v5                      // 
v_accvgpr_read_b32 v5, acc48                       // glvw 1 mb 4 tt1 2 r 0
s_nop 1                                            // v_accvgpr read vgpr after write vgpr: 2 wait states
ds_bpermute_b32 v5, v0, v5, offset:64              // permute edge values
s_waitcnt 0                                        // wait for swizzle operation
v_accvgpr_write_b32 acc48, v5                      // 
v_accvgpr_read_b32 v5, acc49                       // glvw 1 mb 4 tt1 2 r 1
s_nop 1                                            // v_accvgpr read vgpr after write vgpr: 2 wait states
ds_bpermute_b32 v5, v0, v5, offset:64              // permute edge values
s_waitcnt 0                                        // wait for swizzle operation
v_accvgpr_write_b32 acc49, v5                      // 
v_accvgpr_read_b32 v5, acc56                       // glvw 1 mb 4 tt1 3 r 0
s_nop 1                                            // v_accvgpr read vgpr after write vgpr: 2 wait states
ds_bpermute_b32 v5, v0, v5, offset:64              // permute edge values
s_waitcnt 0                                        // wait for swizzle operation
v_accvgpr_write_b32 acc56, v5                      // 
v_accvgpr_read_b32 v5, acc57                       // glvw 1 mb 4 tt1 3 r 1
s_nop 1                                            // v_accvgpr read vgpr after write vgpr: 2 wait states
ds_bpermute_b32 v5, v0, v5, offset:64              // permute edge values
s_waitcnt 0                                        // wait for swizzle operation
v_accvgpr_write_b32 acc57, v5                      // 
s_mov_b64 s[0:1], 0xFFFFFFFFFFFFFFFF               // to restore all threads active
s_or_saveexec_b64 vcc, s[0:1]                      // all threads active
s_branch label_0036                                // done shifting


/******************************************/
/* shift d1 r=1 mb=5 vw0                  */
/******************************************/
label_0031: // r1 mb5 vw0 
s_mov_b32 s0, 34                                   // 
_v_cmpx_eq_u32 s[0:1], v4, s0                      // is thread in edge glvw region
v_and_b32 v0, 63, v[vgprSerial]                    // permute register between threads
v_lshlrev_b32 v0, 2, v0                            // permute register between threads
v_accvgpr_read_b32 v5, acc34                       // glvw 1 mb 5 tt1 0 r 0
s_nop 1                                            // v_accvgpr read vgpr after write vgpr: 2 wait states
ds_bpermute_b32 v5, v0, v5, offset:64              // permute edge values
s_waitcnt 0                                        // wait for swizzle operation
v_accvgpr_write_b32 acc34, v5                      // 
v_accvgpr_read_b32 v5, acc35                       // glvw 1 mb 5 tt1 0 r 1
s_nop 1                                            // v_accvgpr read vgpr after write vgpr: 2 wait states
ds_bpermute_b32 v5, v0, v5, offset:64              // permute edge values
s_waitcnt 0                                        // wait for swizzle operation
v_accvgpr_write_b32 acc35, v5                      // 
v_accvgpr_read_b32 v5, acc42                       // glvw 1 mb 5 tt1 1 r 0
s_nop 1                                            // v_accvgpr read vgpr after write vgpr: 2 wait states
ds_bpermute_b32 v5, v0, v5, offset:64              // permute edge values
s_waitcnt 0                                        // wait for swizzle operation
v_accvgpr_write_b32 acc42, v5                      // 
v_accvgpr_read_b32 v5, acc43                       // glvw 1 mb 5 tt1 1 r 1
s_nop 1                                            // v_accvgpr read vgpr after write vgpr: 2 wait states
ds_bpermute_b32 v5, v0, v5, offset:64              // permute edge values
s_waitcnt 0                                        // wait for swizzle operation
v_accvgpr_write_b32 acc43, v5                      // 
v_accvgpr_read_b32 v5, acc50                       // glvw 1 mb 5 tt1 2 r 0
s_nop 1                                            // v_accvgpr read vgpr after write vgpr: 2 wait states
ds_bpermute_b32 v5, v0, v5, offset:64              // permute edge values
s_waitcnt 0                                        // wait for swizzle operation
v_accvgpr_write_b32 acc50, v5                      // 
v_accvgpr_read_b32 v5, acc51                       // glvw 1 mb 5 tt1 2 r 1
s_nop 1                                            // v_accvgpr read vgpr after write vgpr: 2 wait states
ds_bpermute_b32 v5, v0, v5, offset:64              // permute edge values
s_waitcnt 0                                        // wait for swizzle operation
v_accvgpr_write_b32 acc51, v5                      // 
v_accvgpr_read_b32 v5, acc58                       // glvw 1 mb 5 tt1 3 r 0
s_nop 1                                            // v_accvgpr read vgpr after write vgpr: 2 wait states
ds_bpermute_b32 v5, v0, v5, offset:64              // permute edge values
s_waitcnt 0                                        // wait for swizzle operation
v_accvgpr_write_b32 acc58, v5                      // 
v_accvgpr_read_b32 v5, acc59                       // glvw 1 mb 5 tt1 3 r 1
s_nop 1                                            // v_accvgpr read vgpr after write vgpr: 2 wait states
ds_bpermute_b32 v5, v0, v5, offset:64              // permute edge values
s_waitcnt 0                                        // wait for swizzle operation
v_accvgpr_write_b32 acc59, v5                      // 
s_mov_b64 s[0:1], 0xFFFFFFFFFFFFFFFF               // to restore all threads active
s_or_saveexec_b64 vcc, s[0:1]                      // all threads active
s_branch label_0036                                // done shifting


/******************************************/
/* shift d1 r=1 mb=6 vw0                  */
/******************************************/
label_0033: // r1 mb6 vw0 
s_mov_b32 s0, 36                                   // 
_v_cmpx_eq_u32 s[0:1], v4, s0                      // is thread in edge glvw region
v_and_b32 v0, 63, v[vgprSerial]                    // permute register between threads
v_lshlrev_b32 v0, 2, v0                            // permute register between threads
v_accvgpr_read_b32 v5, acc36                       // glvw 1 mb 6 tt1 0 r 0
s_nop 1                                            // v_accvgpr read vgpr after write vgpr: 2 wait states
ds_bpermute_b32 v5, v0, v5, offset:64              // permute edge values
s_waitcnt 0                                        // wait for swizzle operation
v_accvgpr_write_b32 acc36, v5                      // 
v_accvgpr_read_b32 v5, acc37                       // glvw 1 mb 6 tt1 0 r 1
s_nop 1                                            // v_accvgpr read vgpr after write vgpr: 2 wait states
ds_bpermute_b32 v5, v0, v5, offset:64              // permute edge values
s_waitcnt 0                                        // wait for swizzle operation
v_accvgpr_write_b32 acc37, v5                      // 
v_accvgpr_read_b32 v5, acc44                       // glvw 1 mb 6 tt1 1 r 0
s_nop 1                                            // v_accvgpr read vgpr after write vgpr: 2 wait states
ds_bpermute_b32 v5, v0, v5, offset:64              // permute edge values
s_waitcnt 0                                        // wait for swizzle operation
v_accvgpr_write_b32 acc44, v5                      // 
v_accvgpr_read_b32 v5, acc45                       // glvw 1 mb 6 tt1 1 r 1
s_nop 1                                            // v_accvgpr read vgpr after write vgpr: 2 wait states
ds_bpermute_b32 v5, v0, v5, offset:64              // permute edge values
s_waitcnt 0                                        // wait for swizzle operation
v_accvgpr_write_b32 acc45, v5                      // 
v_accvgpr_read_b32 v5, acc52                       // glvw 1 mb 6 tt1 2 r 0
s_nop 1                                            // v_accvgpr read vgpr after write vgpr: 2 wait states
ds_bpermute_b32 v5, v0, v5, offset:64              // permute edge values
s_waitcnt 0                                        // wait for swizzle operation
v_accvgpr_write_b32 acc52, v5                      // 
v_accvgpr_read_b32 v5, acc53                       // glvw 1 mb 6 tt1 2 r 1
s_nop 1                                            // v_accvgpr read vgpr after write vgpr: 2 wait states
ds_bpermute_b32 v5, v0, v5, offset:64              // permute edge values
s_waitcnt 0                                        // wait for swizzle operation
v_accvgpr_write_b32 acc53, v5                      // 
v_accvgpr_read_b32 v5, acc60                       // glvw 1 mb 6 tt1 3 r 0
s_nop 1                                            // v_accvgpr read vgpr after write vgpr: 2 wait states
ds_bpermute_b32 v5, v0, v5, offset:64              // permute edge values
s_waitcnt 0                                        // wait for swizzle operation
v_accvgpr_write_b32 acc60, v5                      // 
v_accvgpr_read_b32 v5, acc61                       // glvw 1 mb 6 tt1 3 r 1
s_nop 1                                            // v_accvgpr read vgpr after write vgpr: 2 wait states
ds_bpermute_b32 v5, v0, v5, offset:64              // permute edge values
s_waitcnt 0                                        // wait for swizzle operation
v_accvgpr_write_b32 acc61, v5                      // 
s_mov_b64 s[0:1], 0xFFFFFFFFFFFFFFFF               // to restore all threads active
s_or_saveexec_b64 vcc, s[0:1]                      // all threads active
s_branch label_0036                                // done shifting


/******************************************/
/* shift d1 r=1 mb=7 vw0                  */
/******************************************/
label_0035: // r1 mb7 vw0 
s_mov_b32 s0, 38                                   // 
_v_cmpx_eq_u32 s[0:1], v4, s0                      // is thread in edge glvw region
v_and_b32 v0, 63, v[vgprSerial]                    // permute register between threads
v_lshlrev_b32 v0, 2, v0                            // permute register between threads
v_accvgpr_read_b32 v5, acc38                       // glvw 1 mb 7 tt1 0 r 0
s_nop 1                                            // v_accvgpr read vgpr after write vgpr: 2 wait states
ds_bpermute_b32 v5, v0, v5, offset:64              // permute edge values
s_waitcnt 0                                        // wait for swizzle operation
v_accvgpr_write_b32 acc38, v5                      // 
v_accvgpr_read_b32 v5, acc39                       // glvw 1 mb 7 tt1 0 r 1
s_nop 1                                            // v_accvgpr read vgpr after write vgpr: 2 wait states
ds_bpermute_b32 v5, v0, v5, offset:64              // permute edge values
s_waitcnt 0                                        // wait for swizzle operation
v_accvgpr_write_b32 acc39, v5                      // 
v_accvgpr_read_b32 v5, acc46                       // glvw 1 mb 7 tt1 1 r 0
s_nop 1                                            // v_accvgpr read vgpr after write vgpr: 2 wait states
ds_bpermute_b32 v5, v0, v5, offset:64              // permute edge values
s_waitcnt 0                                        // wait for swizzle operation
v_accvgpr_write_b32 acc46, v5                      // 
v_accvgpr_read_b32 v5, acc47                       // glvw 1 mb 7 tt1 1 r 1
s_nop 1                                            // v_accvgpr read vgpr after write vgpr: 2 wait states
ds_bpermute_b32 v5, v0, v5, offset:64              // permute edge values
s_waitcnt 0                                        // wait for swizzle operation
v_accvgpr_write_b32 acc47, v5                      // 
v_accvgpr_read_b32 v5, acc54                       // glvw 1 mb 7 tt1 2 r 0
s_nop 1                                            // v_accvgpr read vgpr after write vgpr: 2 wait states
ds_bpermute_b32 v5, v0, v5, offset:64              // permute edge values
s_waitcnt 0                                        // wait for swizzle operation
v_accvgpr_write_b32 acc54, v5                      // 
v_accvgpr_read_b32 v5, acc55                       // glvw 1 mb 7 tt1 2 r 1
s_nop 1                                            // v_accvgpr read vgpr after write vgpr: 2 wait states
ds_bpermute_b32 v5, v0, v5, offset:64              // permute edge values
s_waitcnt 0                                        // wait for swizzle operation
v_accvgpr_write_b32 acc55, v5                      // 
v_accvgpr_read_b32 v5, acc62                       // glvw 1 mb 7 tt1 3 r 0
s_nop 1                                            // v_accvgpr read vgpr after write vgpr: 2 wait states
ds_bpermute_b32 v5, v0, v5, offset:64              // permute edge values
s_waitcnt 0                                        // wait for swizzle operation
v_accvgpr_write_b32 acc62, v5                      // 
v_accvgpr_read_b32 v5, acc63                       // glvw 1 mb 7 tt1 3 r 1
s_nop 1                                            // v_accvgpr read vgpr after write vgpr: 2 wait states
ds_bpermute_b32 v5, v0, v5, offset:64              // permute edge values
s_waitcnt 0                                        // wait for swizzle operation
v_accvgpr_write_b32 acc63, v5                      // 
s_mov_b64 s[0:1], 0xFFFFFFFFFFFFFFFF               // to restore all threads active
s_or_saveexec_b64 vcc, s[0:1]                      // all threads active
s_branch label_0036                                // done shifting

label_0036: // end shift0


	;; [unrolled: 1-line block ×3, first 2 shown]
/* not-LocalSplitU: global write indices */

/* computeStoreVgprs */
v_lshrrev_b32 v2, 6, v[vgprSerial]                 // v2 = v[vgprSerial] / 64
v_and_b32 v1, 63, v[vgprSerial]                    // v1 = v[vgprSerial] % 64
v_lshrrev_b32 v1, 4, v1                            // v1 = v1 / 16
                                                   // thread0 * continuous_output (multiplier is 1, do nothing)
v_lshrrev_b32 v3, 0, v2                            // v3 = v2 / 1
v_mul_lo_u32 v3, 0x10, v3                          // wave coordination offset 1
_v_add_lshl_u32 v1, v3, v1, 0                      // coordination 1 = vwb *(wave_id1 + tid1)
v_and_b32 v3, 0, v2                                // v3 = v2 % 1
v_and_b32 v0, 15, v[vgprSerial]                    // v0 = v[vgprSerial] % 16
_v_add_lshl_u32 v0, v3, v0, 0                      // coordination 0 = vwa *(wave_id0 + tid0)
s_mul_i32 s0, 64, s[sgprWorkGroup0]                // wgp0 * MT0
_v_add_u32 v0, s0, v0                              // coord 0 = (tid0/MI_m)*4 + waveG0*MIB_m + MT0*SG0
s_mul_i32 s0, 128, s[sgprWorkGroup1]               // wgp1 * MT1
_v_add_u32 v1, s0, v1                              // coord 1 = (tid0%MI_m) + waveG1*MIB_n + MT1*SG1
v_mov_b32 v2, s[sgprAddressD+0]                    // sgpr -> vgpr
v_mov_b32 v3, s[sgprAddressD+1]                    // sgpr -> vgpr
v_mov_b32 v4, s[sgprAddressC+0]                    // sgpr -> vgpr
v_mov_b32 v5, s[sgprAddressC+1]                    // sgpr -> vgpr


/* not-LocalSplitU: global write */

s_mov_b32 s0, s[sgprBeta+0]                        // tmp = Beta[0]
s_or_b32 s0, s[sgprBeta+1], s0                     // tmp |= Beta[1] 
s_cmpk_eq_u32 s0, 0x0                              // Beta == 0
s_cbranch_scc0 GW_Beta_67                          // Branch if Beta is not zero

s_and_b32 s38, 63, s[sgprSizeI]                    // s38 = s[sgprSizeI] % 64
s_add_u32 s39, -0x1, s[sgprNumWorkGroups0]         // 
s_cmp_ge_u32 s[sgprWorkGroup0], s39                // wg0 >= nwg0-1 ?
s_cselect_b32 s38, s38, 0                          // set rMT0
s_cmpk_gt_u32 s38, 0x0                             // rMT0 > 0
s_cbranch_scc1 GW_B0_E1_58                         // jump if edges required
s_and_b32 s38, 127, s[sgprSizeJ]                   // s38 = s[sgprSizeJ] % 128
s_add_u32 s39, -0x1, s[sgprNumWorkGroups1]         // 
s_cmp_ge_u32 s[sgprWorkGroup1], s39                // wg1 >= nwg1-1
s_cselect_b32 s38, s38, 0                          // set rMT1
s_cmpk_gt_u32 s38, 0x0                             // rMT1 > 0
s_cbranch_scc1 GW_B0_E1_58                         // jump if edges required
GW_B0_E0_55:

/* edge=0, allocate 6 sgpr. perBatchTmpS=4 perBatchMaskS=0 perElementMaskS=2 elementsPerBatch=1 */
/* optSingleColVgpr=0 optSharedColVgpr=0 optSGPRUsage=None optSrdIncForRow=0 */
s_sleep 7 // optimization: sync and wait
s_barrier

/******************************************/
/* Global Write Alpha Batch #0 (d1,d0,vc1,vc0) = */
/*    (0,0,0,0:vw1)                       */
/******************************************/

/* calc coords, apply mask, and issue loads (if necessary) */
/* (d1,vc1,d0,vc0)=(0,0,0,0) */
GLOBAL_OFFSET_D 12, 0, 1, sgprWorkGroup2, 8
v_mov_b32 v8, v12                                  // temp store offset 0
v_mov_b32 v9, v13                                  // temp store offset 1
_v_add_co_u32 v12, vcc, v2, v8                     // addrVgpr = D + index*bytes (lo)
_v_addc_co_u32 v13, vcc, v3, v9, vcc               // addrVgpr = D + index*bytes (hi)
v_accvgpr_read_b32 v[vgprValuC+14], acc0 // copy acc to vreg[0]
v_accvgpr_read_b32 v[vgprValuC+15], acc1 // copy acc to vreg[1]
s_nop 1                                            // 2 wait states required before reading vgpr

/* rC *= alpha batchElements=[(0, 0, 0, 0)] */
v_mul_f64 v[vgprValuC+14:vgprValuC+14+1], s[sgprAlpha:sgprAlpha+1], v[vgprValuC+14:vgprValuC+14+1] // *= alpha

/* apply mask, calc new C and issue writes */
_global_store_b64 v[12:13], v[14:15], off,  sc0 sc1 // store D
s_nop 0                                            // 1 wait state required when next inst writes vgprs held by previous dwordx4 store inst
/* optSingleColVgpr=0 optSharedColVgpr=0 optSGPRUsage=None optSrdIncForRow=0 */
s_sleep 7 // optimization: sync and wait
s_barrier

/******************************************/
/* Global Write Alpha Batch #1 (d1,d0,vc1,vc0) = */
/*    (0,1,0,0:vw1)                       */
/******************************************/

/* calc coords, apply mask, and issue loads (if necessary) */
/* (d1,vc1,d0,vc0)=(0,0,1,0) */
_v_add_co_u32 v6, vcc, v0, 16                      // coord0.1: coord0 += d0*sg0*VW + vc0
GLOBAL_OFFSET_D 12, 6, 1, sgprWorkGroup2, 8
v_mov_b32 v8, v12                                  // temp store offset 0
v_mov_b32 v9, v13                                  // temp store offset 1
_v_add_co_u32 v12, vcc, v2, v8                     // addrVgpr = D + index*bytes (lo)
_v_addc_co_u32 v13, vcc, v3, v9, vcc               // addrVgpr = D + index*bytes (hi)
v_accvgpr_read_b32 v[vgprValuC+14], acc8 // copy acc to vreg[2]
v_accvgpr_read_b32 v[vgprValuC+15], acc9 // copy acc to vreg[3]
s_nop 1                                            // 2 wait states required before reading vgpr

/* rC *= alpha batchElements=[(0, 1, 0, 0)] */
v_mul_f64 v[vgprValuC+14:vgprValuC+14+1], s[sgprAlpha:sgprAlpha+1], v[vgprValuC+14:vgprValuC+14+1] // *= alpha

/* apply mask, calc new C and issue writes */
_global_store_b64 v[12:13], v[14:15], off,  sc0 sc1 // store D
s_nop 0                                            // 1 wait state required when next inst writes vgprs held by previous dwordx4 store inst
/* optSingleColVgpr=0 optSharedColVgpr=0 optSGPRUsage=None optSrdIncForRow=0 */
s_sleep 7 // optimization: sync and wait
s_barrier

/******************************************/
/* Global Write Alpha Batch #2 (d1,d0,vc1,vc0) = */
/*    (0,2,0,0:vw1)                       */
/******************************************/

/* calc coords, apply mask, and issue loads (if necessary) */
/* (d1,vc1,d0,vc0)=(0,0,2,0) */
_v_add_co_u32 v6, vcc, v0, 32                      // coord0.1: coord0 += d0*sg0*VW + vc0
GLOBAL_OFFSET_D 12, 6, 1, sgprWorkGroup2, 8
v_mov_b32 v8, v12                                  // temp store offset 0
v_mov_b32 v9, v13                                  // temp store offset 1
_v_add_co_u32 v12, vcc, v2, v8                     // addrVgpr = D + index*bytes (lo)
_v_addc_co_u32 v13, vcc, v3, v9, vcc               // addrVgpr = D + index*bytes (hi)
v_accvgpr_read_b32 v[vgprValuC+14], acc16 // copy acc to vreg[4]
v_accvgpr_read_b32 v[vgprValuC+15], acc17 // copy acc to vreg[5]
s_nop 1                                            // 2 wait states required before reading vgpr

/* rC *= alpha batchElements=[(0, 2, 0, 0)] */
v_mul_f64 v[vgprValuC+14:vgprValuC+14+1], s[sgprAlpha:sgprAlpha+1], v[vgprValuC+14:vgprValuC+14+1] // *= alpha

/* apply mask, calc new C and issue writes */
_global_store_b64 v[12:13], v[14:15], off,  sc0 sc1 // store D
s_nop 0                                            // 1 wait state required when next inst writes vgprs held by previous dwordx4 store inst
/* optSingleColVgpr=0 optSharedColVgpr=0 optSGPRUsage=None optSrdIncForRow=0 */
s_sleep 7 // optimization: sync and wait
s_barrier

/******************************************/
/* Global Write Alpha Batch #3 (d1,d0,vc1,vc0) = */
/*    (0,3,0,0:vw1)                       */
/******************************************/

/* calc coords, apply mask, and issue loads (if necessary) */
/* (d1,vc1,d0,vc0)=(0,0,3,0) */
_v_add_co_u32 v6, vcc, v0, 48                      // coord0.1: coord0 += d0*sg0*VW + vc0
GLOBAL_OFFSET_D 12, 6, 1, sgprWorkGroup2, 8
v_mov_b32 v8, v12                                  // temp store offset 0
v_mov_b32 v9, v13                                  // temp store offset 1
_v_add_co_u32 v12, vcc, v2, v8                     // addrVgpr = D + index*bytes (lo)
_v_addc_co_u32 v13, vcc, v3, v9, vcc               // addrVgpr = D + index*bytes (hi)
v_accvgpr_read_b32 v[vgprValuC+14], acc24 // copy acc to vreg[6]
v_accvgpr_read_b32 v[vgprValuC+15], acc25 // copy acc to vreg[7]
s_nop 1                                            // 2 wait states required before reading vgpr

/* rC *= alpha batchElements=[(0, 3, 0, 0)] */
v_mul_f64 v[vgprValuC+14:vgprValuC+14+1], s[sgprAlpha:sgprAlpha+1], v[vgprValuC+14:vgprValuC+14+1] // *= alpha

/* apply mask, calc new C and issue writes */
_global_store_b64 v[12:13], v[14:15], off,  sc0 sc1 // store D
s_nop 0                                            // 1 wait state required when next inst writes vgprs held by previous dwordx4 store inst
/* optSingleColVgpr=0 optSharedColVgpr=0 optSGPRUsage=None optSrdIncForRow=0 */
s_sleep 7 // optimization: sync and wait
s_barrier

/******************************************/
/* Global Write Alpha Batch #4 (d1,d0,vc1,vc0) = */
/*    (1,0,0,0:vw1)                       */
/******************************************/

/* calc coords, apply mask, and issue loads (if necessary) */
/* (d1,vc1,d0,vc0)=(1,0,0,0) */
_v_add_co_u32 v1, vcc, v1, 4                       // coord1.1: coord1Vgpr += d1*sg1*VW + vc1
GLOBAL_OFFSET_D 12, 0, 1, sgprWorkGroup2, 8
v_mov_b32 v8, v12                                  // temp store offset 0
v_mov_b32 v9, v13                                  // temp store offset 1
_v_add_co_u32 v12, vcc, v2, v8                     // addrVgpr = D + index*bytes (lo)
_v_addc_co_u32 v13, vcc, v3, v9, vcc               // addrVgpr = D + index*bytes (hi)
v_accvgpr_read_b32 v[vgprValuC+14], acc2 // copy acc to vreg[8]
v_accvgpr_read_b32 v[vgprValuC+15], acc3 // copy acc to vreg[9]
s_nop 1                                            // 2 wait states required before reading vgpr

/* rC *= alpha batchElements=[(1, 0, 0, 0)] */
v_mul_f64 v[vgprValuC+14:vgprValuC+14+1], s[sgprAlpha:sgprAlpha+1], v[vgprValuC+14:vgprValuC+14+1] // *= alpha

/* apply mask, calc new C and issue writes */
_global_store_b64 v[12:13], v[14:15], off,  sc0 sc1 // store D
s_nop 0                                            // 1 wait state required when next inst writes vgprs held by previous dwordx4 store inst
/* optSingleColVgpr=0 optSharedColVgpr=0 optSGPRUsage=None optSrdIncForRow=0 */
s_sleep 7 // optimization: sync and wait
s_barrier

/******************************************/
/* Global Write Alpha Batch #5 (d1,d0,vc1,vc0) = */
/*    (1,1,0,0:vw1)                       */
/******************************************/

/* calc coords, apply mask, and issue loads (if necessary) */
/* (d1,vc1,d0,vc0)=(1,0,1,0) */
_v_add_co_u32 v6, vcc, v0, 16                      // coord0.1: coord0 += d0*sg0*VW + vc0
GLOBAL_OFFSET_D 12, 6, 1, sgprWorkGroup2, 8
v_mov_b32 v8, v12                                  // temp store offset 0
v_mov_b32 v9, v13                                  // temp store offset 1
_v_add_co_u32 v12, vcc, v2, v8                     // addrVgpr = D + index*bytes (lo)
_v_addc_co_u32 v13, vcc, v3, v9, vcc               // addrVgpr = D + index*bytes (hi)
v_accvgpr_read_b32 v[vgprValuC+14], acc10 // copy acc to vreg[10]
v_accvgpr_read_b32 v[vgprValuC+15], acc11 // copy acc to vreg[11]
s_nop 1                                            // 2 wait states required before reading vgpr

/* rC *= alpha batchElements=[(1, 1, 0, 0)] */
v_mul_f64 v[vgprValuC+14:vgprValuC+14+1], s[sgprAlpha:sgprAlpha+1], v[vgprValuC+14:vgprValuC+14+1] // *= alpha

/* apply mask, calc new C and issue writes */
_global_store_b64 v[12:13], v[14:15], off,  sc0 sc1 // store D
s_nop 0                                            // 1 wait state required when next inst writes vgprs held by previous dwordx4 store inst
/* optSingleColVgpr=0 optSharedColVgpr=0 optSGPRUsage=None optSrdIncForRow=0 */
s_sleep 7 // optimization: sync and wait
s_barrier

/******************************************/
/* Global Write Alpha Batch #6 (d1,d0,vc1,vc0) = */
/*    (1,2,0,0:vw1)                       */
/******************************************/

/* calc coords, apply mask, and issue loads (if necessary) */
/* (d1,vc1,d0,vc0)=(1,0,2,0) */
_v_add_co_u32 v6, vcc, v0, 32                      // coord0.1: coord0 += d0*sg0*VW + vc0
GLOBAL_OFFSET_D 12, 6, 1, sgprWorkGroup2, 8
v_mov_b32 v8, v12                                  // temp store offset 0
v_mov_b32 v9, v13                                  // temp store offset 1
_v_add_co_u32 v12, vcc, v2, v8                     // addrVgpr = D + index*bytes (lo)
_v_addc_co_u32 v13, vcc, v3, v9, vcc               // addrVgpr = D + index*bytes (hi)
v_accvgpr_read_b32 v[vgprValuC+14], acc18 // copy acc to vreg[12]
v_accvgpr_read_b32 v[vgprValuC+15], acc19 // copy acc to vreg[13]
s_nop 1                                            // 2 wait states required before reading vgpr

/* rC *= alpha batchElements=[(1, 2, 0, 0)] */
v_mul_f64 v[vgprValuC+14:vgprValuC+14+1], s[sgprAlpha:sgprAlpha+1], v[vgprValuC+14:vgprValuC+14+1] // *= alpha

/* apply mask, calc new C and issue writes */
_global_store_b64 v[12:13], v[14:15], off,  sc0 sc1 // store D
s_nop 0                                            // 1 wait state required when next inst writes vgprs held by previous dwordx4 store inst
/* optSingleColVgpr=0 optSharedColVgpr=0 optSGPRUsage=None optSrdIncForRow=0 */
s_sleep 7 // optimization: sync and wait
s_barrier

/******************************************/
/* Global Write Alpha Batch #7 (d1,d0,vc1,vc0) = */
/*    (1,3,0,0:vw1)                       */
/******************************************/

/* calc coords, apply mask, and issue loads (if necessary) */
/* (d1,vc1,d0,vc0)=(1,0,3,0) */
_v_add_co_u32 v6, vcc, v0, 48                      // coord0.1: coord0 += d0*sg0*VW + vc0
GLOBAL_OFFSET_D 12, 6, 1, sgprWorkGroup2, 8
v_mov_b32 v8, v12                                  // temp store offset 0
v_mov_b32 v9, v13                                  // temp store offset 1
_v_add_co_u32 v12, vcc, v2, v8                     // addrVgpr = D + index*bytes (lo)
_v_addc_co_u32 v13, vcc, v3, v9, vcc               // addrVgpr = D + index*bytes (hi)
v_accvgpr_read_b32 v[vgprValuC+14], acc26 // copy acc to vreg[14]
v_accvgpr_read_b32 v[vgprValuC+15], acc27 // copy acc to vreg[15]
s_nop 1                                            // 2 wait states required before reading vgpr

/* rC *= alpha batchElements=[(1, 3, 0, 0)] */
v_mul_f64 v[vgprValuC+14:vgprValuC+14+1], s[sgprAlpha:sgprAlpha+1], v[vgprValuC+14:vgprValuC+14+1] // *= alpha

/* apply mask, calc new C and issue writes */
_global_store_b64 v[12:13], v[14:15], off,  sc0 sc1 // store D
s_nop 0                                            // 1 wait state required when next inst writes vgprs held by previous dwordx4 store inst
/* optSingleColVgpr=0 optSharedColVgpr=0 optSGPRUsage=None optSrdIncForRow=0 */
s_sleep 7 // optimization: sync and wait
s_barrier

/******************************************/
/* Global Write Alpha Batch #8 (d1,d0,vc1,vc0) = */
/*    (2,0,0,0:vw1)                       */
/******************************************/

/* calc coords, apply mask, and issue loads (if necessary) */
/* (d1,vc1,d0,vc0)=(2,0,0,0) */
_v_add_co_u32 v1, vcc, v1, 4                       // coord1.1: coord1Vgpr += d1*sg1*VW + vc1
GLOBAL_OFFSET_D 12, 0, 1, sgprWorkGroup2, 8
v_mov_b32 v8, v12                                  // temp store offset 0
v_mov_b32 v9, v13                                  // temp store offset 1
_v_add_co_u32 v12, vcc, v2, v8                     // addrVgpr = D + index*bytes (lo)
_v_addc_co_u32 v13, vcc, v3, v9, vcc               // addrVgpr = D + index*bytes (hi)
v_accvgpr_read_b32 v[vgprValuC+14], acc4 // copy acc to vreg[16]
v_accvgpr_read_b32 v[vgprValuC+15], acc5 // copy acc to vreg[17]
s_nop 1                                            // 2 wait states required before reading vgpr

/* rC *= alpha batchElements=[(2, 0, 0, 0)] */
v_mul_f64 v[vgprValuC+14:vgprValuC+14+1], s[sgprAlpha:sgprAlpha+1], v[vgprValuC+14:vgprValuC+14+1] // *= alpha

/* apply mask, calc new C and issue writes */
_global_store_b64 v[12:13], v[14:15], off,  sc0 sc1 // store D
s_nop 0                                            // 1 wait state required when next inst writes vgprs held by previous dwordx4 store inst
/* optSingleColVgpr=0 optSharedColVgpr=0 optSGPRUsage=None optSrdIncForRow=0 */
s_sleep 7 // optimization: sync and wait
s_barrier

/******************************************/
/* Global Write Alpha Batch #9 (d1,d0,vc1,vc0) = */
/*    (2,1,0,0:vw1)                       */
/******************************************/

/* calc coords, apply mask, and issue loads (if necessary) */
/* (d1,vc1,d0,vc0)=(2,0,1,0) */
_v_add_co_u32 v6, vcc, v0, 16                      // coord0.1: coord0 += d0*sg0*VW + vc0
GLOBAL_OFFSET_D 12, 6, 1, sgprWorkGroup2, 8
v_mov_b32 v8, v12                                  // temp store offset 0
v_mov_b32 v9, v13                                  // temp store offset 1
_v_add_co_u32 v12, vcc, v2, v8                     // addrVgpr = D + index*bytes (lo)
_v_addc_co_u32 v13, vcc, v3, v9, vcc               // addrVgpr = D + index*bytes (hi)
v_accvgpr_read_b32 v[vgprValuC+14], acc12 // copy acc to vreg[18]
v_accvgpr_read_b32 v[vgprValuC+15], acc13 // copy acc to vreg[19]
s_nop 1                                            // 2 wait states required before reading vgpr

/* rC *= alpha batchElements=[(2, 1, 0, 0)] */
v_mul_f64 v[vgprValuC+14:vgprValuC+14+1], s[sgprAlpha:sgprAlpha+1], v[vgprValuC+14:vgprValuC+14+1] // *= alpha

/* apply mask, calc new C and issue writes */
_global_store_b64 v[12:13], v[14:15], off,  sc0 sc1 // store D
s_nop 0                                            // 1 wait state required when next inst writes vgprs held by previous dwordx4 store inst
/* optSingleColVgpr=0 optSharedColVgpr=0 optSGPRUsage=None optSrdIncForRow=0 */
s_sleep 7 // optimization: sync and wait
s_barrier

/******************************************/
/* Global Write Alpha Batch #10 (d1,d0,vc1,vc0) = */
/*    (2,2,0,0:vw1)                       */
/******************************************/

/* calc coords, apply mask, and issue loads (if necessary) */
/* (d1,vc1,d0,vc0)=(2,0,2,0) */
_v_add_co_u32 v6, vcc, v0, 32                      // coord0.1: coord0 += d0*sg0*VW + vc0
GLOBAL_OFFSET_D 12, 6, 1, sgprWorkGroup2, 8
v_mov_b32 v8, v12                                  // temp store offset 0
v_mov_b32 v9, v13                                  // temp store offset 1
_v_add_co_u32 v12, vcc, v2, v8                     // addrVgpr = D + index*bytes (lo)
_v_addc_co_u32 v13, vcc, v3, v9, vcc               // addrVgpr = D + index*bytes (hi)
v_accvgpr_read_b32 v[vgprValuC+14], acc20 // copy acc to vreg[20]
v_accvgpr_read_b32 v[vgprValuC+15], acc21 // copy acc to vreg[21]
s_nop 1                                            // 2 wait states required before reading vgpr

/* rC *= alpha batchElements=[(2, 2, 0, 0)] */
v_mul_f64 v[vgprValuC+14:vgprValuC+14+1], s[sgprAlpha:sgprAlpha+1], v[vgprValuC+14:vgprValuC+14+1] // *= alpha

/* apply mask, calc new C and issue writes */
_global_store_b64 v[12:13], v[14:15], off,  sc0 sc1 // store D
s_nop 0                                            // 1 wait state required when next inst writes vgprs held by previous dwordx4 store inst
/* optSingleColVgpr=0 optSharedColVgpr=0 optSGPRUsage=None optSrdIncForRow=0 */
s_sleep 7 // optimization: sync and wait
s_barrier

/******************************************/
/* Global Write Alpha Batch #11 (d1,d0,vc1,vc0) = */
/*    (2,3,0,0:vw1)                       */
/******************************************/

/* calc coords, apply mask, and issue loads (if necessary) */
/* (d1,vc1,d0,vc0)=(2,0,3,0) */
_v_add_co_u32 v6, vcc, v0, 48                      // coord0.1: coord0 += d0*sg0*VW + vc0
GLOBAL_OFFSET_D 12, 6, 1, sgprWorkGroup2, 8
v_mov_b32 v8, v12                                  // temp store offset 0
v_mov_b32 v9, v13                                  // temp store offset 1
_v_add_co_u32 v12, vcc, v2, v8                     // addrVgpr = D + index*bytes (lo)
_v_addc_co_u32 v13, vcc, v3, v9, vcc               // addrVgpr = D + index*bytes (hi)
v_accvgpr_read_b32 v[vgprValuC+14], acc28 // copy acc to vreg[22]
v_accvgpr_read_b32 v[vgprValuC+15], acc29 // copy acc to vreg[23]
s_nop 1                                            // 2 wait states required before reading vgpr

/* rC *= alpha batchElements=[(2, 3, 0, 0)] */
v_mul_f64 v[vgprValuC+14:vgprValuC+14+1], s[sgprAlpha:sgprAlpha+1], v[vgprValuC+14:vgprValuC+14+1] // *= alpha

/* apply mask, calc new C and issue writes */
_global_store_b64 v[12:13], v[14:15], off,  sc0 sc1 // store D
s_nop 0                                            // 1 wait state required when next inst writes vgprs held by previous dwordx4 store inst
/* optSingleColVgpr=0 optSharedColVgpr=0 optSGPRUsage=None optSrdIncForRow=0 */
s_sleep 7 // optimization: sync and wait
s_barrier

/******************************************/
/* Global Write Alpha Batch #12 (d1,d0,vc1,vc0) = */
/*    (3,0,0,0:vw1)                       */
/******************************************/

/* calc coords, apply mask, and issue loads (if necessary) */
/* (d1,vc1,d0,vc0)=(3,0,0,0) */
_v_add_co_u32 v1, vcc, v1, 4                       // coord1.1: coord1Vgpr += d1*sg1*VW + vc1
GLOBAL_OFFSET_D 12, 0, 1, sgprWorkGroup2, 8
v_mov_b32 v8, v12                                  // temp store offset 0
v_mov_b32 v9, v13                                  // temp store offset 1
_v_add_co_u32 v12, vcc, v2, v8                     // addrVgpr = D + index*bytes (lo)
_v_addc_co_u32 v13, vcc, v3, v9, vcc               // addrVgpr = D + index*bytes (hi)
v_accvgpr_read_b32 v[vgprValuC+14], acc6 // copy acc to vreg[24]
v_accvgpr_read_b32 v[vgprValuC+15], acc7 // copy acc to vreg[25]
s_nop 1                                            // 2 wait states required before reading vgpr

/* rC *= alpha batchElements=[(3, 0, 0, 0)] */
v_mul_f64 v[vgprValuC+14:vgprValuC+14+1], s[sgprAlpha:sgprAlpha+1], v[vgprValuC+14:vgprValuC+14+1] // *= alpha

/* apply mask, calc new C and issue writes */
_global_store_b64 v[12:13], v[14:15], off,  sc0 sc1 // store D
s_nop 0                                            // 1 wait state required when next inst writes vgprs held by previous dwordx4 store inst
/* optSingleColVgpr=0 optSharedColVgpr=0 optSGPRUsage=None optSrdIncForRow=0 */
s_sleep 7 // optimization: sync and wait
s_barrier

/******************************************/
/* Global Write Alpha Batch #13 (d1,d0,vc1,vc0) = */
/*    (3,1,0,0:vw1)                       */
/******************************************/

/* calc coords, apply mask, and issue loads (if necessary) */
/* (d1,vc1,d0,vc0)=(3,0,1,0) */
_v_add_co_u32 v6, vcc, v0, 16                      // coord0.1: coord0 += d0*sg0*VW + vc0
GLOBAL_OFFSET_D 12, 6, 1, sgprWorkGroup2, 8
v_mov_b32 v8, v12                                  // temp store offset 0
v_mov_b32 v9, v13                                  // temp store offset 1
_v_add_co_u32 v12, vcc, v2, v8                     // addrVgpr = D + index*bytes (lo)
_v_addc_co_u32 v13, vcc, v3, v9, vcc               // addrVgpr = D + index*bytes (hi)
v_accvgpr_read_b32 v[vgprValuC+14], acc14 // copy acc to vreg[26]
v_accvgpr_read_b32 v[vgprValuC+15], acc15 // copy acc to vreg[27]
s_nop 1                                            // 2 wait states required before reading vgpr

/* rC *= alpha batchElements=[(3, 1, 0, 0)] */
v_mul_f64 v[vgprValuC+14:vgprValuC+14+1], s[sgprAlpha:sgprAlpha+1], v[vgprValuC+14:vgprValuC+14+1] // *= alpha

/* apply mask, calc new C and issue writes */
_global_store_b64 v[12:13], v[14:15], off,  sc0 sc1 // store D
s_nop 0                                            // 1 wait state required when next inst writes vgprs held by previous dwordx4 store inst
/* optSingleColVgpr=0 optSharedColVgpr=0 optSGPRUsage=None optSrdIncForRow=0 */
s_sleep 7 // optimization: sync and wait
s_barrier

/******************************************/
/* Global Write Alpha Batch #14 (d1,d0,vc1,vc0) = */
/*    (3,2,0,0:vw1)                       */
/******************************************/

/* calc coords, apply mask, and issue loads (if necessary) */
/* (d1,vc1,d0,vc0)=(3,0,2,0) */
_v_add_co_u32 v6, vcc, v0, 32                      // coord0.1: coord0 += d0*sg0*VW + vc0
GLOBAL_OFFSET_D 12, 6, 1, sgprWorkGroup2, 8
v_mov_b32 v8, v12                                  // temp store offset 0
v_mov_b32 v9, v13                                  // temp store offset 1
_v_add_co_u32 v12, vcc, v2, v8                     // addrVgpr = D + index*bytes (lo)
_v_addc_co_u32 v13, vcc, v3, v9, vcc               // addrVgpr = D + index*bytes (hi)
v_accvgpr_read_b32 v[vgprValuC+14], acc22 // copy acc to vreg[28]
v_accvgpr_read_b32 v[vgprValuC+15], acc23 // copy acc to vreg[29]
s_nop 1                                            // 2 wait states required before reading vgpr

/* rC *= alpha batchElements=[(3, 2, 0, 0)] */
v_mul_f64 v[vgprValuC+14:vgprValuC+14+1], s[sgprAlpha:sgprAlpha+1], v[vgprValuC+14:vgprValuC+14+1] // *= alpha

/* apply mask, calc new C and issue writes */
_global_store_b64 v[12:13], v[14:15], off,  sc0 sc1 // store D
s_nop 0                                            // 1 wait state required when next inst writes vgprs held by previous dwordx4 store inst
/* optSingleColVgpr=0 optSharedColVgpr=0 optSGPRUsage=None optSrdIncForRow=0 */
s_sleep 7 // optimization: sync and wait
s_barrier

/******************************************/
/* Global Write Alpha Batch #15 (d1,d0,vc1,vc0) = */
/*    (3,3,0,0:vw1)                       */
/******************************************/

/* calc coords, apply mask, and issue loads (if necessary) */
/* (d1,vc1,d0,vc0)=(3,0,3,0) */
_v_add_co_u32 v6, vcc, v0, 48                      // coord0.1: coord0 += d0*sg0*VW + vc0
GLOBAL_OFFSET_D 12, 6, 1, sgprWorkGroup2, 8
v_mov_b32 v8, v12                                  // temp store offset 0
v_mov_b32 v9, v13                                  // temp store offset 1
_v_add_co_u32 v12, vcc, v2, v8                     // addrVgpr = D + index*bytes (lo)
_v_addc_co_u32 v13, vcc, v3, v9, vcc               // addrVgpr = D + index*bytes (hi)
v_accvgpr_read_b32 v[vgprValuC+14], acc30 // copy acc to vreg[30]
v_accvgpr_read_b32 v[vgprValuC+15], acc31 // copy acc to vreg[31]
s_nop 1                                            // 2 wait states required before reading vgpr

/* rC *= alpha batchElements=[(3, 3, 0, 0)] */
v_mul_f64 v[vgprValuC+14:vgprValuC+14+1], s[sgprAlpha:sgprAlpha+1], v[vgprValuC+14:vgprValuC+14+1] // *= alpha

/* apply mask, calc new C and issue writes */
_global_store_b64 v[12:13], v[14:15], off,  sc0 sc1 // store D
s_nop 0                                            // 1 wait state required when next inst writes vgprs held by previous dwordx4 store inst
/* optSingleColVgpr=0 optSharedColVgpr=0 optSGPRUsage=None optSrdIncForRow=0 */
s_sleep 7 // optimization: sync and wait
s_barrier

/******************************************/
/* Global Write Alpha Batch #16 (d1,d0,vc1,vc0) = */
/*    (4,0,0,0:vw1)                       */
/******************************************/

/* calc coords, apply mask, and issue loads (if necessary) */
/* (d1,vc1,d0,vc0)=(4,0,0,0) */
_v_add_co_u32 v1, vcc, v1, 52                      // coord1.1: coord1Vgpr += d1*sg1*VW + vc1
GLOBAL_OFFSET_D 12, 0, 1, sgprWorkGroup2, 8
v_mov_b32 v8, v12                                  // temp store offset 0
v_mov_b32 v9, v13                                  // temp store offset 1
_v_add_co_u32 v12, vcc, v2, v8                     // addrVgpr = D + index*bytes (lo)
_v_addc_co_u32 v13, vcc, v3, v9, vcc               // addrVgpr = D + index*bytes (hi)
v_accvgpr_read_b32 v[vgprValuC+14], acc32 // copy acc to vreg[32]
v_accvgpr_read_b32 v[vgprValuC+15], acc33 // copy acc to vreg[33]
s_nop 1                                            // 2 wait states required before reading vgpr

/* rC *= alpha batchElements=[(4, 0, 0, 0)] */
v_mul_f64 v[vgprValuC+14:vgprValuC+14+1], s[sgprAlpha:sgprAlpha+1], v[vgprValuC+14:vgprValuC+14+1] // *= alpha

/* apply mask, calc new C and issue writes */
_global_store_b64 v[12:13], v[14:15], off,  sc0 sc1 // store D
s_nop 0                                            // 1 wait state required when next inst writes vgprs held by previous dwordx4 store inst
/* optSingleColVgpr=0 optSharedColVgpr=0 optSGPRUsage=None optSrdIncForRow=0 */
s_sleep 7 // optimization: sync and wait
s_barrier

/******************************************/
/* Global Write Alpha Batch #17 (d1,d0,vc1,vc0) = */
/*    (4,1,0,0:vw1)                       */
/******************************************/

/* calc coords, apply mask, and issue loads (if necessary) */
/* (d1,vc1,d0,vc0)=(4,0,1,0) */
_v_add_co_u32 v6, vcc, v0, 16                      // coord0.1: coord0 += d0*sg0*VW + vc0
GLOBAL_OFFSET_D 12, 6, 1, sgprWorkGroup2, 8
v_mov_b32 v8, v12                                  // temp store offset 0
v_mov_b32 v9, v13                                  // temp store offset 1
_v_add_co_u32 v12, vcc, v2, v8                     // addrVgpr = D + index*bytes (lo)
_v_addc_co_u32 v13, vcc, v3, v9, vcc               // addrVgpr = D + index*bytes (hi)
v_accvgpr_read_b32 v[vgprValuC+14], acc40 // copy acc to vreg[34]
v_accvgpr_read_b32 v[vgprValuC+15], acc41 // copy acc to vreg[35]
s_nop 1                                            // 2 wait states required before reading vgpr

/* rC *= alpha batchElements=[(4, 1, 0, 0)] */
v_mul_f64 v[vgprValuC+14:vgprValuC+14+1], s[sgprAlpha:sgprAlpha+1], v[vgprValuC+14:vgprValuC+14+1] // *= alpha

/* apply mask, calc new C and issue writes */
_global_store_b64 v[12:13], v[14:15], off,  sc0 sc1 // store D
s_nop 0                                            // 1 wait state required when next inst writes vgprs held by previous dwordx4 store inst
/* optSingleColVgpr=0 optSharedColVgpr=0 optSGPRUsage=None optSrdIncForRow=0 */
s_sleep 7 // optimization: sync and wait
s_barrier

/******************************************/
/* Global Write Alpha Batch #18 (d1,d0,vc1,vc0) = */
/*    (4,2,0,0:vw1)                       */
/******************************************/

/* calc coords, apply mask, and issue loads (if necessary) */
/* (d1,vc1,d0,vc0)=(4,0,2,0) */
_v_add_co_u32 v6, vcc, v0, 32                      // coord0.1: coord0 += d0*sg0*VW + vc0
GLOBAL_OFFSET_D 12, 6, 1, sgprWorkGroup2, 8
v_mov_b32 v8, v12                                  // temp store offset 0
v_mov_b32 v9, v13                                  // temp store offset 1
_v_add_co_u32 v12, vcc, v2, v8                     // addrVgpr = D + index*bytes (lo)
_v_addc_co_u32 v13, vcc, v3, v9, vcc               // addrVgpr = D + index*bytes (hi)
v_accvgpr_read_b32 v[vgprValuC+14], acc48 // copy acc to vreg[36]
v_accvgpr_read_b32 v[vgprValuC+15], acc49 // copy acc to vreg[37]
s_nop 1                                            // 2 wait states required before reading vgpr

/* rC *= alpha batchElements=[(4, 2, 0, 0)] */
v_mul_f64 v[vgprValuC+14:vgprValuC+14+1], s[sgprAlpha:sgprAlpha+1], v[vgprValuC+14:vgprValuC+14+1] // *= alpha

/* apply mask, calc new C and issue writes */
_global_store_b64 v[12:13], v[14:15], off,  sc0 sc1 // store D
s_nop 0                                            // 1 wait state required when next inst writes vgprs held by previous dwordx4 store inst
/* optSingleColVgpr=0 optSharedColVgpr=0 optSGPRUsage=None optSrdIncForRow=0 */
s_sleep 7 // optimization: sync and wait
s_barrier

/******************************************/
/* Global Write Alpha Batch #19 (d1,d0,vc1,vc0) = */
/*    (4,3,0,0:vw1)                       */
/******************************************/

/* calc coords, apply mask, and issue loads (if necessary) */
/* (d1,vc1,d0,vc0)=(4,0,3,0) */
_v_add_co_u32 v6, vcc, v0, 48                      // coord0.1: coord0 += d0*sg0*VW + vc0
GLOBAL_OFFSET_D 12, 6, 1, sgprWorkGroup2, 8
v_mov_b32 v8, v12                                  // temp store offset 0
v_mov_b32 v9, v13                                  // temp store offset 1
_v_add_co_u32 v12, vcc, v2, v8                     // addrVgpr = D + index*bytes (lo)
_v_addc_co_u32 v13, vcc, v3, v9, vcc               // addrVgpr = D + index*bytes (hi)
v_accvgpr_read_b32 v[vgprValuC+14], acc56 // copy acc to vreg[38]
v_accvgpr_read_b32 v[vgprValuC+15], acc57 // copy acc to vreg[39]
s_nop 1                                            // 2 wait states required before reading vgpr

/* rC *= alpha batchElements=[(4, 3, 0, 0)] */
v_mul_f64 v[vgprValuC+14:vgprValuC+14+1], s[sgprAlpha:sgprAlpha+1], v[vgprValuC+14:vgprValuC+14+1] // *= alpha

/* apply mask, calc new C and issue writes */
_global_store_b64 v[12:13], v[14:15], off,  sc0 sc1 // store D
s_nop 0                                            // 1 wait state required when next inst writes vgprs held by previous dwordx4 store inst
/* optSingleColVgpr=0 optSharedColVgpr=0 optSGPRUsage=None optSrdIncForRow=0 */
s_sleep 7 // optimization: sync and wait
s_barrier

/******************************************/
/* Global Write Alpha Batch #20 (d1,d0,vc1,vc0) = */
/*    (5,0,0,0:vw1)                       */
/******************************************/

/* calc coords, apply mask, and issue loads (if necessary) */
/* (d1,vc1,d0,vc0)=(5,0,0,0) */
_v_add_co_u32 v1, vcc, v1, 4                       // coord1.1: coord1Vgpr += d1*sg1*VW + vc1
GLOBAL_OFFSET_D 12, 0, 1, sgprWorkGroup2, 8
v_mov_b32 v8, v12                                  // temp store offset 0
v_mov_b32 v9, v13                                  // temp store offset 1
_v_add_co_u32 v12, vcc, v2, v8                     // addrVgpr = D + index*bytes (lo)
_v_addc_co_u32 v13, vcc, v3, v9, vcc               // addrVgpr = D + index*bytes (hi)
v_accvgpr_read_b32 v[vgprValuC+14], acc34 // copy acc to vreg[40]
v_accvgpr_read_b32 v[vgprValuC+15], acc35 // copy acc to vreg[41]
s_nop 1                                            // 2 wait states required before reading vgpr

/* rC *= alpha batchElements=[(5, 0, 0, 0)] */
v_mul_f64 v[vgprValuC+14:vgprValuC+14+1], s[sgprAlpha:sgprAlpha+1], v[vgprValuC+14:vgprValuC+14+1] // *= alpha

/* apply mask, calc new C and issue writes */
_global_store_b64 v[12:13], v[14:15], off,  sc0 sc1 // store D
s_nop 0                                            // 1 wait state required when next inst writes vgprs held by previous dwordx4 store inst
/* optSingleColVgpr=0 optSharedColVgpr=0 optSGPRUsage=None optSrdIncForRow=0 */
s_sleep 7 // optimization: sync and wait
s_barrier

/******************************************/
/* Global Write Alpha Batch #21 (d1,d0,vc1,vc0) = */
/*    (5,1,0,0:vw1)                       */
/******************************************/

/* calc coords, apply mask, and issue loads (if necessary) */
/* (d1,vc1,d0,vc0)=(5,0,1,0) */
_v_add_co_u32 v6, vcc, v0, 16                      // coord0.1: coord0 += d0*sg0*VW + vc0
GLOBAL_OFFSET_D 12, 6, 1, sgprWorkGroup2, 8
v_mov_b32 v8, v12                                  // temp store offset 0
v_mov_b32 v9, v13                                  // temp store offset 1
_v_add_co_u32 v12, vcc, v2, v8                     // addrVgpr = D + index*bytes (lo)
_v_addc_co_u32 v13, vcc, v3, v9, vcc               // addrVgpr = D + index*bytes (hi)
v_accvgpr_read_b32 v[vgprValuC+14], acc42 // copy acc to vreg[42]
v_accvgpr_read_b32 v[vgprValuC+15], acc43 // copy acc to vreg[43]
s_nop 1                                            // 2 wait states required before reading vgpr

/* rC *= alpha batchElements=[(5, 1, 0, 0)] */
v_mul_f64 v[vgprValuC+14:vgprValuC+14+1], s[sgprAlpha:sgprAlpha+1], v[vgprValuC+14:vgprValuC+14+1] // *= alpha

/* apply mask, calc new C and issue writes */
_global_store_b64 v[12:13], v[14:15], off,  sc0 sc1 // store D
s_nop 0                                            // 1 wait state required when next inst writes vgprs held by previous dwordx4 store inst
/* optSingleColVgpr=0 optSharedColVgpr=0 optSGPRUsage=None optSrdIncForRow=0 */
s_sleep 7 // optimization: sync and wait
s_barrier

/******************************************/
/* Global Write Alpha Batch #22 (d1,d0,vc1,vc0) = */
/*    (5,2,0,0:vw1)                       */
/******************************************/

/* calc coords, apply mask, and issue loads (if necessary) */
/* (d1,vc1,d0,vc0)=(5,0,2,0) */
_v_add_co_u32 v6, vcc, v0, 32                      // coord0.1: coord0 += d0*sg0*VW + vc0
GLOBAL_OFFSET_D 12, 6, 1, sgprWorkGroup2, 8
v_mov_b32 v8, v12                                  // temp store offset 0
v_mov_b32 v9, v13                                  // temp store offset 1
_v_add_co_u32 v12, vcc, v2, v8                     // addrVgpr = D + index*bytes (lo)
_v_addc_co_u32 v13, vcc, v3, v9, vcc               // addrVgpr = D + index*bytes (hi)
v_accvgpr_read_b32 v[vgprValuC+14], acc50 // copy acc to vreg[44]
v_accvgpr_read_b32 v[vgprValuC+15], acc51 // copy acc to vreg[45]
s_nop 1                                            // 2 wait states required before reading vgpr

/* rC *= alpha batchElements=[(5, 2, 0, 0)] */
v_mul_f64 v[vgprValuC+14:vgprValuC+14+1], s[sgprAlpha:sgprAlpha+1], v[vgprValuC+14:vgprValuC+14+1] // *= alpha

/* apply mask, calc new C and issue writes */
_global_store_b64 v[12:13], v[14:15], off,  sc0 sc1 // store D
s_nop 0                                            // 1 wait state required when next inst writes vgprs held by previous dwordx4 store inst
/* optSingleColVgpr=0 optSharedColVgpr=0 optSGPRUsage=None optSrdIncForRow=0 */
s_sleep 7 // optimization: sync and wait
s_barrier

/******************************************/
/* Global Write Alpha Batch #23 (d1,d0,vc1,vc0) = */
/*    (5,3,0,0:vw1)                       */
/******************************************/

/* calc coords, apply mask, and issue loads (if necessary) */
/* (d1,vc1,d0,vc0)=(5,0,3,0) */
_v_add_co_u32 v6, vcc, v0, 48                      // coord0.1: coord0 += d0*sg0*VW + vc0
GLOBAL_OFFSET_D 12, 6, 1, sgprWorkGroup2, 8
v_mov_b32 v8, v12                                  // temp store offset 0
v_mov_b32 v9, v13                                  // temp store offset 1
_v_add_co_u32 v12, vcc, v2, v8                     // addrVgpr = D + index*bytes (lo)
_v_addc_co_u32 v13, vcc, v3, v9, vcc               // addrVgpr = D + index*bytes (hi)
v_accvgpr_read_b32 v[vgprValuC+14], acc58 // copy acc to vreg[46]
v_accvgpr_read_b32 v[vgprValuC+15], acc59 // copy acc to vreg[47]
s_nop 1                                            // 2 wait states required before reading vgpr

/* rC *= alpha batchElements=[(5, 3, 0, 0)] */
v_mul_f64 v[vgprValuC+14:vgprValuC+14+1], s[sgprAlpha:sgprAlpha+1], v[vgprValuC+14:vgprValuC+14+1] // *= alpha

/* apply mask, calc new C and issue writes */
_global_store_b64 v[12:13], v[14:15], off,  sc0 sc1 // store D
s_nop 0                                            // 1 wait state required when next inst writes vgprs held by previous dwordx4 store inst
/* optSingleColVgpr=0 optSharedColVgpr=0 optSGPRUsage=None optSrdIncForRow=0 */
s_sleep 7 // optimization: sync and wait
s_barrier

/******************************************/
/* Global Write Alpha Batch #24 (d1,d0,vc1,vc0) = */
/*    (6,0,0,0:vw1)                       */
/******************************************/

/* calc coords, apply mask, and issue loads (if necessary) */
/* (d1,vc1,d0,vc0)=(6,0,0,0) */
_v_add_co_u32 v1, vcc, v1, 4                       // coord1.1: coord1Vgpr += d1*sg1*VW + vc1
GLOBAL_OFFSET_D 12, 0, 1, sgprWorkGroup2, 8
v_mov_b32 v8, v12                                  // temp store offset 0
v_mov_b32 v9, v13                                  // temp store offset 1
_v_add_co_u32 v12, vcc, v2, v8                     // addrVgpr = D + index*bytes (lo)
_v_addc_co_u32 v13, vcc, v3, v9, vcc               // addrVgpr = D + index*bytes (hi)
v_accvgpr_read_b32 v[vgprValuC+14], acc36 // copy acc to vreg[48]
v_accvgpr_read_b32 v[vgprValuC+15], acc37 // copy acc to vreg[49]
s_nop 1                                            // 2 wait states required before reading vgpr

/* rC *= alpha batchElements=[(6, 0, 0, 0)] */
v_mul_f64 v[vgprValuC+14:vgprValuC+14+1], s[sgprAlpha:sgprAlpha+1], v[vgprValuC+14:vgprValuC+14+1] // *= alpha

/* apply mask, calc new C and issue writes */
_global_store_b64 v[12:13], v[14:15], off,  sc0 sc1 // store D
s_nop 0                                            // 1 wait state required when next inst writes vgprs held by previous dwordx4 store inst
/* optSingleColVgpr=0 optSharedColVgpr=0 optSGPRUsage=None optSrdIncForRow=0 */
s_sleep 7 // optimization: sync and wait
s_barrier

/******************************************/
/* Global Write Alpha Batch #25 (d1,d0,vc1,vc0) = */
/*    (6,1,0,0:vw1)                       */
/******************************************/

/* calc coords, apply mask, and issue loads (if necessary) */
/* (d1,vc1,d0,vc0)=(6,0,1,0) */
_v_add_co_u32 v6, vcc, v0, 16                      // coord0.1: coord0 += d0*sg0*VW + vc0
GLOBAL_OFFSET_D 12, 6, 1, sgprWorkGroup2, 8
v_mov_b32 v8, v12                                  // temp store offset 0
v_mov_b32 v9, v13                                  // temp store offset 1
_v_add_co_u32 v12, vcc, v2, v8                     // addrVgpr = D + index*bytes (lo)
_v_addc_co_u32 v13, vcc, v3, v9, vcc               // addrVgpr = D + index*bytes (hi)
v_accvgpr_read_b32 v[vgprValuC+14], acc44 // copy acc to vreg[50]
v_accvgpr_read_b32 v[vgprValuC+15], acc45 // copy acc to vreg[51]
s_nop 1                                            // 2 wait states required before reading vgpr

/* rC *= alpha batchElements=[(6, 1, 0, 0)] */
v_mul_f64 v[vgprValuC+14:vgprValuC+14+1], s[sgprAlpha:sgprAlpha+1], v[vgprValuC+14:vgprValuC+14+1] // *= alpha

/* apply mask, calc new C and issue writes */
_global_store_b64 v[12:13], v[14:15], off,  sc0 sc1 // store D
s_nop 0                                            // 1 wait state required when next inst writes vgprs held by previous dwordx4 store inst
/* optSingleColVgpr=0 optSharedColVgpr=0 optSGPRUsage=None optSrdIncForRow=0 */
s_sleep 7 // optimization: sync and wait
s_barrier

/******************************************/
/* Global Write Alpha Batch #26 (d1,d0,vc1,vc0) = */
/*    (6,2,0,0:vw1)                       */
/******************************************/

/* calc coords, apply mask, and issue loads (if necessary) */
/* (d1,vc1,d0,vc0)=(6,0,2,0) */
_v_add_co_u32 v6, vcc, v0, 32                      // coord0.1: coord0 += d0*sg0*VW + vc0
GLOBAL_OFFSET_D 12, 6, 1, sgprWorkGroup2, 8
v_mov_b32 v8, v12                                  // temp store offset 0
v_mov_b32 v9, v13                                  // temp store offset 1
_v_add_co_u32 v12, vcc, v2, v8                     // addrVgpr = D + index*bytes (lo)
_v_addc_co_u32 v13, vcc, v3, v9, vcc               // addrVgpr = D + index*bytes (hi)
v_accvgpr_read_b32 v[vgprValuC+14], acc52 // copy acc to vreg[52]
v_accvgpr_read_b32 v[vgprValuC+15], acc53 // copy acc to vreg[53]
s_nop 1                                            // 2 wait states required before reading vgpr

/* rC *= alpha batchElements=[(6, 2, 0, 0)] */
v_mul_f64 v[vgprValuC+14:vgprValuC+14+1], s[sgprAlpha:sgprAlpha+1], v[vgprValuC+14:vgprValuC+14+1] // *= alpha

/* apply mask, calc new C and issue writes */
_global_store_b64 v[12:13], v[14:15], off,  sc0 sc1 // store D
s_nop 0                                            // 1 wait state required when next inst writes vgprs held by previous dwordx4 store inst
/* optSingleColVgpr=0 optSharedColVgpr=0 optSGPRUsage=None optSrdIncForRow=0 */
s_sleep 7 // optimization: sync and wait
s_barrier

/******************************************/
/* Global Write Alpha Batch #27 (d1,d0,vc1,vc0) = */
/*    (6,3,0,0:vw1)                       */
/******************************************/

/* calc coords, apply mask, and issue loads (if necessary) */
/* (d1,vc1,d0,vc0)=(6,0,3,0) */
_v_add_co_u32 v6, vcc, v0, 48                      // coord0.1: coord0 += d0*sg0*VW + vc0
GLOBAL_OFFSET_D 12, 6, 1, sgprWorkGroup2, 8
v_mov_b32 v8, v12                                  // temp store offset 0
v_mov_b32 v9, v13                                  // temp store offset 1
_v_add_co_u32 v12, vcc, v2, v8                     // addrVgpr = D + index*bytes (lo)
_v_addc_co_u32 v13, vcc, v3, v9, vcc               // addrVgpr = D + index*bytes (hi)
v_accvgpr_read_b32 v[vgprValuC+14], acc60 // copy acc to vreg[54]
v_accvgpr_read_b32 v[vgprValuC+15], acc61 // copy acc to vreg[55]
s_nop 1                                            // 2 wait states required before reading vgpr

/* rC *= alpha batchElements=[(6, 3, 0, 0)] */
v_mul_f64 v[vgprValuC+14:vgprValuC+14+1], s[sgprAlpha:sgprAlpha+1], v[vgprValuC+14:vgprValuC+14+1] // *= alpha

/* apply mask, calc new C and issue writes */
_global_store_b64 v[12:13], v[14:15], off,  sc0 sc1 // store D
s_nop 0                                            // 1 wait state required when next inst writes vgprs held by previous dwordx4 store inst
/* optSingleColVgpr=0 optSharedColVgpr=0 optSGPRUsage=None optSrdIncForRow=0 */
s_sleep 7 // optimization: sync and wait
s_barrier

/******************************************/
/* Global Write Alpha Batch #28 (d1,d0,vc1,vc0) = */
/*    (7,0,0,0:vw1)                       */
/******************************************/

/* calc coords, apply mask, and issue loads (if necessary) */
/* (d1,vc1,d0,vc0)=(7,0,0,0) */
_v_add_co_u32 v1, vcc, v1, 4                       // coord1.1: coord1Vgpr += d1*sg1*VW + vc1
GLOBAL_OFFSET_D 12, 0, 1, sgprWorkGroup2, 8
v_mov_b32 v8, v12                                  // temp store offset 0
v_mov_b32 v9, v13                                  // temp store offset 1
_v_add_co_u32 v12, vcc, v2, v8                     // addrVgpr = D + index*bytes (lo)
_v_addc_co_u32 v13, vcc, v3, v9, vcc               // addrVgpr = D + index*bytes (hi)
v_accvgpr_read_b32 v[vgprValuC+14], acc38 // copy acc to vreg[56]
v_accvgpr_read_b32 v[vgprValuC+15], acc39 // copy acc to vreg[57]
s_nop 1                                            // 2 wait states required before reading vgpr

/* rC *= alpha batchElements=[(7, 0, 0, 0)] */
v_mul_f64 v[vgprValuC+14:vgprValuC+14+1], s[sgprAlpha:sgprAlpha+1], v[vgprValuC+14:vgprValuC+14+1] // *= alpha

/* apply mask, calc new C and issue writes */
_global_store_b64 v[12:13], v[14:15], off,  sc0 sc1 // store D
s_nop 0                                            // 1 wait state required when next inst writes vgprs held by previous dwordx4 store inst
/* optSingleColVgpr=0 optSharedColVgpr=0 optSGPRUsage=None optSrdIncForRow=0 */
s_sleep 7 // optimization: sync and wait
s_barrier

/******************************************/
/* Global Write Alpha Batch #29 (d1,d0,vc1,vc0) = */
/*    (7,1,0,0:vw1)                       */
/******************************************/

/* calc coords, apply mask, and issue loads (if necessary) */
/* (d1,vc1,d0,vc0)=(7,0,1,0) */
_v_add_co_u32 v6, vcc, v0, 16                      // coord0.1: coord0 += d0*sg0*VW + vc0
GLOBAL_OFFSET_D 12, 6, 1, sgprWorkGroup2, 8
v_mov_b32 v8, v12                                  // temp store offset 0
v_mov_b32 v9, v13                                  // temp store offset 1
_v_add_co_u32 v12, vcc, v2, v8                     // addrVgpr = D + index*bytes (lo)
_v_addc_co_u32 v13, vcc, v3, v9, vcc               // addrVgpr = D + index*bytes (hi)
v_accvgpr_read_b32 v[vgprValuC+14], acc46 // copy acc to vreg[58]
v_accvgpr_read_b32 v[vgprValuC+15], acc47 // copy acc to vreg[59]
s_nop 1                                            // 2 wait states required before reading vgpr

/* rC *= alpha batchElements=[(7, 1, 0, 0)] */
v_mul_f64 v[vgprValuC+14:vgprValuC+14+1], s[sgprAlpha:sgprAlpha+1], v[vgprValuC+14:vgprValuC+14+1] // *= alpha

/* apply mask, calc new C and issue writes */
_global_store_b64 v[12:13], v[14:15], off,  sc0 sc1 // store D
s_nop 0                                            // 1 wait state required when next inst writes vgprs held by previous dwordx4 store inst
/* optSingleColVgpr=0 optSharedColVgpr=0 optSGPRUsage=None optSrdIncForRow=0 */
s_sleep 7 // optimization: sync and wait
s_barrier

/******************************************/
/* Global Write Alpha Batch #30 (d1,d0,vc1,vc0) = */
/*    (7,2,0,0:vw1)                       */
/******************************************/

/* calc coords, apply mask, and issue loads (if necessary) */
/* (d1,vc1,d0,vc0)=(7,0,2,0) */
_v_add_co_u32 v6, vcc, v0, 32                      // coord0.1: coord0 += d0*sg0*VW + vc0
GLOBAL_OFFSET_D 12, 6, 1, sgprWorkGroup2, 8
v_mov_b32 v8, v12                                  // temp store offset 0
v_mov_b32 v9, v13                                  // temp store offset 1
_v_add_co_u32 v12, vcc, v2, v8                     // addrVgpr = D + index*bytes (lo)
_v_addc_co_u32 v13, vcc, v3, v9, vcc               // addrVgpr = D + index*bytes (hi)
v_accvgpr_read_b32 v[vgprValuC+14], acc54 // copy acc to vreg[60]
v_accvgpr_read_b32 v[vgprValuC+15], acc55 // copy acc to vreg[61]
s_nop 1                                            // 2 wait states required before reading vgpr

/* rC *= alpha batchElements=[(7, 2, 0, 0)] */
v_mul_f64 v[vgprValuC+14:vgprValuC+14+1], s[sgprAlpha:sgprAlpha+1], v[vgprValuC+14:vgprValuC+14+1] // *= alpha

/* apply mask, calc new C and issue writes */
_global_store_b64 v[12:13], v[14:15], off,  sc0 sc1 // store D
s_nop 0                                            // 1 wait state required when next inst writes vgprs held by previous dwordx4 store inst
/* optSingleColVgpr=0 optSharedColVgpr=0 optSGPRUsage=None optSrdIncForRow=0 */
s_sleep 7 // optimization: sync and wait
s_barrier

/******************************************/
/* Global Write Alpha Batch #31 (d1,d0,vc1,vc0) = */
/*    (7,3,0,0:vw1)                       */
/******************************************/

/* calc coords, apply mask, and issue loads (if necessary) */
/* (d1,vc1,d0,vc0)=(7,0,3,0) */
_v_add_co_u32 v6, vcc, v0, 48                      // coord0.1: coord0 += d0*sg0*VW + vc0
GLOBAL_OFFSET_D 12, 6, 1, sgprWorkGroup2, 8
v_mov_b32 v8, v12                                  // temp store offset 0
v_mov_b32 v9, v13                                  // temp store offset 1
_v_add_co_u32 v12, vcc, v2, v8                     // addrVgpr = D + index*bytes (lo)
_v_addc_co_u32 v13, vcc, v3, v9, vcc               // addrVgpr = D + index*bytes (hi)
v_accvgpr_read_b32 v[vgprValuC+14], acc62 // copy acc to vreg[62]
v_accvgpr_read_b32 v[vgprValuC+15], acc63 // copy acc to vreg[63]
s_nop 1                                            // 2 wait states required before reading vgpr

/* rC *= alpha batchElements=[(7, 3, 0, 0)] */
v_mul_f64 v[vgprValuC+14:vgprValuC+14+1], s[sgprAlpha:sgprAlpha+1], v[vgprValuC+14:vgprValuC+14+1] // *= alpha

/* apply mask, calc new C and issue writes */
_global_store_b64 v[12:13], v[14:15], off,  sc0 sc1 // store D
s_nop 0                                            // 1 wait state required when next inst writes vgprs held by previous dwordx4 store inst
s_branch label_GW_End_66                           // jump to end
GW_B0_E1_58:

/* edge=1, allocate 6 sgpr. perBatchTmpS=4 perBatchMaskS=0 perElementMaskS=2 elementsPerBatch=1 */
/* optSingleColVgpr=0 optSharedColVgpr=0 optSGPRUsage=None optSrdIncForRow=0 */
s_sleep 7 // optimization: sync and wait
s_barrier

/******************************************/
/* Global Write Alpha Edge Batch #0 (d1,d0,vc1,vc0) = */
/*    (0,0,0,0:vw1)                       */
/******************************************/

/* calc coords, apply mask, and issue loads (if necessary) */
/* (d1,vc1,d0,vc0)=(0,0,0,0) */
GLOBAL_OFFSET_D 12, 0, 1, sgprWorkGroup2, 8
v_mov_b32 v8, v12                                  // temp store offset 0
v_mov_b32 v9, v13                                  // temp store offset 1
v_cmp_lt_u32 s[38:39], v0, s[sgprSizesFree+0]      // coord0 < size0
v_cmp_lt_u32 s[40:41], v1, s[sgprSizesFree+1]      // coord1 < size1
s_and_b64 s[42:43], s[38:39], s[40:41]             // in0 && in1
_v_add_co_u32 v12, vcc, v2, v8                     // addrVgpr = D + index*bytes (lo)
_v_addc_co_u32 v13, vcc, v3, v9, vcc               // addrVgpr = D + index*bytes (hi)
v_accvgpr_read_b32 v[vgprValuC+14], acc0 // copy acc to vreg[0]
v_accvgpr_read_b32 v[vgprValuC+15], acc1 // copy acc to vreg[1]
s_nop 1                                            // 2 wait states required before reading vgpr

/* rC *= alpha batchElements=[(0, 0, 0, 0)] */
v_mul_f64 v[vgprValuC+14:vgprValuC+14+1], s[sgprAlpha:sgprAlpha+1], v[vgprValuC+14:vgprValuC+14+1] // *= alpha

/* apply mask, calc new C and issue writes */
s_mov_b64 exec, s[42:43]                           // sgprs -> exec
_global_store_b64 v[12:13], v[14:15], off,  sc0 sc1 // store D
s_mov_b64 exec, -1                                 // full mask -> exec
s_nop 0                                            // 1 wait state required when next inst writes vgprs held by previous dwordx4 store inst
/* optSingleColVgpr=0 optSharedColVgpr=0 optSGPRUsage=None optSrdIncForRow=0 */
s_sleep 7 // optimization: sync and wait
s_barrier

/******************************************/
/* Global Write Alpha Edge Batch #1 (d1,d0,vc1,vc0) = */
/*    (0,1,0,0:vw1)                       */
/******************************************/

/* calc coords, apply mask, and issue loads (if necessary) */
/* (d1,vc1,d0,vc0)=(0,0,1,0) */
_v_add_co_u32 v6, vcc, v0, 16                      // coord0.1: coord0 += d0*sg0*VW + vc0
GLOBAL_OFFSET_D 12, 6, 1, sgprWorkGroup2, 8
v_mov_b32 v8, v12                                  // temp store offset 0
v_mov_b32 v9, v13                                  // temp store offset 1
v_cmp_lt_u32 s[38:39], v6, s[sgprSizesFree+0]      // coord0 < size0
v_cmp_lt_u32 s[40:41], v1, s[sgprSizesFree+1]      // coord1 < size1
s_and_b64 s[42:43], s[38:39], s[40:41]             // in0 && in1
_v_add_co_u32 v12, vcc, v2, v8                     // addrVgpr = D + index*bytes (lo)
_v_addc_co_u32 v13, vcc, v3, v9, vcc               // addrVgpr = D + index*bytes (hi)
v_accvgpr_read_b32 v[vgprValuC+14], acc8 // copy acc to vreg[2]
v_accvgpr_read_b32 v[vgprValuC+15], acc9 // copy acc to vreg[3]
s_nop 1                                            // 2 wait states required before reading vgpr

/* rC *= alpha batchElements=[(0, 1, 0, 0)] */
v_mul_f64 v[vgprValuC+14:vgprValuC+14+1], s[sgprAlpha:sgprAlpha+1], v[vgprValuC+14:vgprValuC+14+1] // *= alpha

/* apply mask, calc new C and issue writes */
s_mov_b64 exec, s[42:43]                           // sgprs -> exec
_global_store_b64 v[12:13], v[14:15], off,  sc0 sc1 // store D
s_mov_b64 exec, -1                                 // full mask -> exec
s_nop 0                                            // 1 wait state required when next inst writes vgprs held by previous dwordx4 store inst
/* optSingleColVgpr=0 optSharedColVgpr=0 optSGPRUsage=None optSrdIncForRow=0 */
s_sleep 7 // optimization: sync and wait
s_barrier

/******************************************/
/* Global Write Alpha Edge Batch #2 (d1,d0,vc1,vc0) = */
/*    (0,2,0,0:vw1)                       */
/******************************************/

/* calc coords, apply mask, and issue loads (if necessary) */
/* (d1,vc1,d0,vc0)=(0,0,2,0) */
_v_add_co_u32 v6, vcc, v0, 32                      // coord0.1: coord0 += d0*sg0*VW + vc0
GLOBAL_OFFSET_D 12, 6, 1, sgprWorkGroup2, 8
v_mov_b32 v8, v12                                  // temp store offset 0
v_mov_b32 v9, v13                                  // temp store offset 1
v_cmp_lt_u32 s[38:39], v6, s[sgprSizesFree+0]      // coord0 < size0
v_cmp_lt_u32 s[40:41], v1, s[sgprSizesFree+1]      // coord1 < size1
s_and_b64 s[42:43], s[38:39], s[40:41]             // in0 && in1
_v_add_co_u32 v12, vcc, v2, v8                     // addrVgpr = D + index*bytes (lo)
_v_addc_co_u32 v13, vcc, v3, v9, vcc               // addrVgpr = D + index*bytes (hi)
v_accvgpr_read_b32 v[vgprValuC+14], acc16 // copy acc to vreg[4]
v_accvgpr_read_b32 v[vgprValuC+15], acc17 // copy acc to vreg[5]
s_nop 1                                            // 2 wait states required before reading vgpr

/* rC *= alpha batchElements=[(0, 2, 0, 0)] */
v_mul_f64 v[vgprValuC+14:vgprValuC+14+1], s[sgprAlpha:sgprAlpha+1], v[vgprValuC+14:vgprValuC+14+1] // *= alpha

/* apply mask, calc new C and issue writes */
s_mov_b64 exec, s[42:43]                           // sgprs -> exec
_global_store_b64 v[12:13], v[14:15], off,  sc0 sc1 // store D
s_mov_b64 exec, -1                                 // full mask -> exec
s_nop 0                                            // 1 wait state required when next inst writes vgprs held by previous dwordx4 store inst
/* optSingleColVgpr=0 optSharedColVgpr=0 optSGPRUsage=None optSrdIncForRow=0 */
s_sleep 7 // optimization: sync and wait
s_barrier

/******************************************/
/* Global Write Alpha Edge Batch #3 (d1,d0,vc1,vc0) = */
/*    (0,3,0,0:vw1)                       */
/******************************************/

/* calc coords, apply mask, and issue loads (if necessary) */
/* (d1,vc1,d0,vc0)=(0,0,3,0) */
_v_add_co_u32 v6, vcc, v0, 48                      // coord0.1: coord0 += d0*sg0*VW + vc0
GLOBAL_OFFSET_D 12, 6, 1, sgprWorkGroup2, 8
v_mov_b32 v8, v12                                  // temp store offset 0
v_mov_b32 v9, v13                                  // temp store offset 1
v_cmp_lt_u32 s[38:39], v6, s[sgprSizesFree+0]      // coord0 < size0
v_cmp_lt_u32 s[40:41], v1, s[sgprSizesFree+1]      // coord1 < size1
s_and_b64 s[42:43], s[38:39], s[40:41]             // in0 && in1
_v_add_co_u32 v12, vcc, v2, v8                     // addrVgpr = D + index*bytes (lo)
_v_addc_co_u32 v13, vcc, v3, v9, vcc               // addrVgpr = D + index*bytes (hi)
v_accvgpr_read_b32 v[vgprValuC+14], acc24 // copy acc to vreg[6]
v_accvgpr_read_b32 v[vgprValuC+15], acc25 // copy acc to vreg[7]
s_nop 1                                            // 2 wait states required before reading vgpr

/* rC *= alpha batchElements=[(0, 3, 0, 0)] */
v_mul_f64 v[vgprValuC+14:vgprValuC+14+1], s[sgprAlpha:sgprAlpha+1], v[vgprValuC+14:vgprValuC+14+1] // *= alpha

/* apply mask, calc new C and issue writes */
s_mov_b64 exec, s[42:43]                           // sgprs -> exec
_global_store_b64 v[12:13], v[14:15], off,  sc0 sc1 // store D
s_mov_b64 exec, -1                                 // full mask -> exec
s_nop 0                                            // 1 wait state required when next inst writes vgprs held by previous dwordx4 store inst
/* optSingleColVgpr=0 optSharedColVgpr=0 optSGPRUsage=None optSrdIncForRow=0 */
s_sleep 7 // optimization: sync and wait
s_barrier

/******************************************/
/* Global Write Alpha Edge Batch #4 (d1,d0,vc1,vc0) = */
/*    (1,0,0,0:vw1)                       */
/******************************************/

/* calc coords, apply mask, and issue loads (if necessary) */
/* (d1,vc1,d0,vc0)=(1,0,0,0) */
_v_add_co_u32 v1, vcc, v1, 4                       // coord1.1: coord1Vgpr += d1*sg1*VW + vc1
GLOBAL_OFFSET_D 12, 0, 1, sgprWorkGroup2, 8
v_mov_b32 v8, v12                                  // temp store offset 0
v_mov_b32 v9, v13                                  // temp store offset 1
v_cmp_lt_u32 s[38:39], v0, s[sgprSizesFree+0]      // coord0 < size0
v_cmp_lt_u32 s[40:41], v1, s[sgprSizesFree+1]      // coord1 < size1
s_and_b64 s[42:43], s[38:39], s[40:41]             // in0 && in1
_v_add_co_u32 v12, vcc, v2, v8                     // addrVgpr = D + index*bytes (lo)
_v_addc_co_u32 v13, vcc, v3, v9, vcc               // addrVgpr = D + index*bytes (hi)
v_accvgpr_read_b32 v[vgprValuC+14], acc2 // copy acc to vreg[8]
v_accvgpr_read_b32 v[vgprValuC+15], acc3 // copy acc to vreg[9]
s_nop 1                                            // 2 wait states required before reading vgpr

/* rC *= alpha batchElements=[(1, 0, 0, 0)] */
v_mul_f64 v[vgprValuC+14:vgprValuC+14+1], s[sgprAlpha:sgprAlpha+1], v[vgprValuC+14:vgprValuC+14+1] // *= alpha

/* apply mask, calc new C and issue writes */
s_mov_b64 exec, s[42:43]                           // sgprs -> exec
_global_store_b64 v[12:13], v[14:15], off,  sc0 sc1 // store D
s_mov_b64 exec, -1                                 // full mask -> exec
s_nop 0                                            // 1 wait state required when next inst writes vgprs held by previous dwordx4 store inst
/* optSingleColVgpr=0 optSharedColVgpr=0 optSGPRUsage=None optSrdIncForRow=0 */
s_sleep 7 // optimization: sync and wait
s_barrier

/******************************************/
/* Global Write Alpha Edge Batch #5 (d1,d0,vc1,vc0) = */
/*    (1,1,0,0:vw1)                       */
/******************************************/

/* calc coords, apply mask, and issue loads (if necessary) */
/* (d1,vc1,d0,vc0)=(1,0,1,0) */
_v_add_co_u32 v6, vcc, v0, 16                      // coord0.1: coord0 += d0*sg0*VW + vc0
GLOBAL_OFFSET_D 12, 6, 1, sgprWorkGroup2, 8
v_mov_b32 v8, v12                                  // temp store offset 0
v_mov_b32 v9, v13                                  // temp store offset 1
v_cmp_lt_u32 s[38:39], v6, s[sgprSizesFree+0]      // coord0 < size0
v_cmp_lt_u32 s[40:41], v1, s[sgprSizesFree+1]      // coord1 < size1
s_and_b64 s[42:43], s[38:39], s[40:41]             // in0 && in1
_v_add_co_u32 v12, vcc, v2, v8                     // addrVgpr = D + index*bytes (lo)
_v_addc_co_u32 v13, vcc, v3, v9, vcc               // addrVgpr = D + index*bytes (hi)
v_accvgpr_read_b32 v[vgprValuC+14], acc10 // copy acc to vreg[10]
v_accvgpr_read_b32 v[vgprValuC+15], acc11 // copy acc to vreg[11]
s_nop 1                                            // 2 wait states required before reading vgpr

/* rC *= alpha batchElements=[(1, 1, 0, 0)] */
v_mul_f64 v[vgprValuC+14:vgprValuC+14+1], s[sgprAlpha:sgprAlpha+1], v[vgprValuC+14:vgprValuC+14+1] // *= alpha

/* apply mask, calc new C and issue writes */
s_mov_b64 exec, s[42:43]                           // sgprs -> exec
_global_store_b64 v[12:13], v[14:15], off,  sc0 sc1 // store D
s_mov_b64 exec, -1                                 // full mask -> exec
s_nop 0                                            // 1 wait state required when next inst writes vgprs held by previous dwordx4 store inst
/* optSingleColVgpr=0 optSharedColVgpr=0 optSGPRUsage=None optSrdIncForRow=0 */
s_sleep 7 // optimization: sync and wait
s_barrier

/******************************************/
/* Global Write Alpha Edge Batch #6 (d1,d0,vc1,vc0) = */
/*    (1,2,0,0:vw1)                       */
/******************************************/

/* calc coords, apply mask, and issue loads (if necessary) */
/* (d1,vc1,d0,vc0)=(1,0,2,0) */
_v_add_co_u32 v6, vcc, v0, 32                      // coord0.1: coord0 += d0*sg0*VW + vc0
GLOBAL_OFFSET_D 12, 6, 1, sgprWorkGroup2, 8
v_mov_b32 v8, v12                                  // temp store offset 0
v_mov_b32 v9, v13                                  // temp store offset 1
v_cmp_lt_u32 s[38:39], v6, s[sgprSizesFree+0]      // coord0 < size0
v_cmp_lt_u32 s[40:41], v1, s[sgprSizesFree+1]      // coord1 < size1
s_and_b64 s[42:43], s[38:39], s[40:41]             // in0 && in1
_v_add_co_u32 v12, vcc, v2, v8                     // addrVgpr = D + index*bytes (lo)
_v_addc_co_u32 v13, vcc, v3, v9, vcc               // addrVgpr = D + index*bytes (hi)
v_accvgpr_read_b32 v[vgprValuC+14], acc18 // copy acc to vreg[12]
v_accvgpr_read_b32 v[vgprValuC+15], acc19 // copy acc to vreg[13]
s_nop 1                                            // 2 wait states required before reading vgpr

/* rC *= alpha batchElements=[(1, 2, 0, 0)] */
v_mul_f64 v[vgprValuC+14:vgprValuC+14+1], s[sgprAlpha:sgprAlpha+1], v[vgprValuC+14:vgprValuC+14+1] // *= alpha

/* apply mask, calc new C and issue writes */
s_mov_b64 exec, s[42:43]                           // sgprs -> exec
_global_store_b64 v[12:13], v[14:15], off,  sc0 sc1 // store D
s_mov_b64 exec, -1                                 // full mask -> exec
s_nop 0                                            // 1 wait state required when next inst writes vgprs held by previous dwordx4 store inst
/* optSingleColVgpr=0 optSharedColVgpr=0 optSGPRUsage=None optSrdIncForRow=0 */
s_sleep 7 // optimization: sync and wait
s_barrier

/******************************************/
/* Global Write Alpha Edge Batch #7 (d1,d0,vc1,vc0) = */
/*    (1,3,0,0:vw1)                       */
/******************************************/

/* calc coords, apply mask, and issue loads (if necessary) */
/* (d1,vc1,d0,vc0)=(1,0,3,0) */
_v_add_co_u32 v6, vcc, v0, 48                      // coord0.1: coord0 += d0*sg0*VW + vc0
GLOBAL_OFFSET_D 12, 6, 1, sgprWorkGroup2, 8
v_mov_b32 v8, v12                                  // temp store offset 0
v_mov_b32 v9, v13                                  // temp store offset 1
v_cmp_lt_u32 s[38:39], v6, s[sgprSizesFree+0]      // coord0 < size0
v_cmp_lt_u32 s[40:41], v1, s[sgprSizesFree+1]      // coord1 < size1
s_and_b64 s[42:43], s[38:39], s[40:41]             // in0 && in1
_v_add_co_u32 v12, vcc, v2, v8                     // addrVgpr = D + index*bytes (lo)
_v_addc_co_u32 v13, vcc, v3, v9, vcc               // addrVgpr = D + index*bytes (hi)
v_accvgpr_read_b32 v[vgprValuC+14], acc26 // copy acc to vreg[14]
v_accvgpr_read_b32 v[vgprValuC+15], acc27 // copy acc to vreg[15]
s_nop 1                                            // 2 wait states required before reading vgpr

/* rC *= alpha batchElements=[(1, 3, 0, 0)] */
v_mul_f64 v[vgprValuC+14:vgprValuC+14+1], s[sgprAlpha:sgprAlpha+1], v[vgprValuC+14:vgprValuC+14+1] // *= alpha

/* apply mask, calc new C and issue writes */
s_mov_b64 exec, s[42:43]                           // sgprs -> exec
_global_store_b64 v[12:13], v[14:15], off,  sc0 sc1 // store D
s_mov_b64 exec, -1                                 // full mask -> exec
s_nop 0                                            // 1 wait state required when next inst writes vgprs held by previous dwordx4 store inst
/* optSingleColVgpr=0 optSharedColVgpr=0 optSGPRUsage=None optSrdIncForRow=0 */
s_sleep 7 // optimization: sync and wait
s_barrier

/******************************************/
/* Global Write Alpha Edge Batch #8 (d1,d0,vc1,vc0) = */
/*    (2,0,0,0:vw1)                       */
/******************************************/

/* calc coords, apply mask, and issue loads (if necessary) */
/* (d1,vc1,d0,vc0)=(2,0,0,0) */
_v_add_co_u32 v1, vcc, v1, 4                       // coord1.1: coord1Vgpr += d1*sg1*VW + vc1
GLOBAL_OFFSET_D 12, 0, 1, sgprWorkGroup2, 8
v_mov_b32 v8, v12                                  // temp store offset 0
v_mov_b32 v9, v13                                  // temp store offset 1
v_cmp_lt_u32 s[38:39], v0, s[sgprSizesFree+0]      // coord0 < size0
v_cmp_lt_u32 s[40:41], v1, s[sgprSizesFree+1]      // coord1 < size1
s_and_b64 s[42:43], s[38:39], s[40:41]             // in0 && in1
_v_add_co_u32 v12, vcc, v2, v8                     // addrVgpr = D + index*bytes (lo)
_v_addc_co_u32 v13, vcc, v3, v9, vcc               // addrVgpr = D + index*bytes (hi)
v_accvgpr_read_b32 v[vgprValuC+14], acc4 // copy acc to vreg[16]
v_accvgpr_read_b32 v[vgprValuC+15], acc5 // copy acc to vreg[17]
s_nop 1                                            // 2 wait states required before reading vgpr

/* rC *= alpha batchElements=[(2, 0, 0, 0)] */
v_mul_f64 v[vgprValuC+14:vgprValuC+14+1], s[sgprAlpha:sgprAlpha+1], v[vgprValuC+14:vgprValuC+14+1] // *= alpha

/* apply mask, calc new C and issue writes */
s_mov_b64 exec, s[42:43]                           // sgprs -> exec
_global_store_b64 v[12:13], v[14:15], off,  sc0 sc1 // store D
s_mov_b64 exec, -1                                 // full mask -> exec
s_nop 0                                            // 1 wait state required when next inst writes vgprs held by previous dwordx4 store inst
/* optSingleColVgpr=0 optSharedColVgpr=0 optSGPRUsage=None optSrdIncForRow=0 */
s_sleep 7 // optimization: sync and wait
s_barrier

/******************************************/
/* Global Write Alpha Edge Batch #9 (d1,d0,vc1,vc0) = */
/*    (2,1,0,0:vw1)                       */
/******************************************/

/* calc coords, apply mask, and issue loads (if necessary) */
/* (d1,vc1,d0,vc0)=(2,0,1,0) */
_v_add_co_u32 v6, vcc, v0, 16                      // coord0.1: coord0 += d0*sg0*VW + vc0
GLOBAL_OFFSET_D 12, 6, 1, sgprWorkGroup2, 8
v_mov_b32 v8, v12                                  // temp store offset 0
v_mov_b32 v9, v13                                  // temp store offset 1
v_cmp_lt_u32 s[38:39], v6, s[sgprSizesFree+0]      // coord0 < size0
v_cmp_lt_u32 s[40:41], v1, s[sgprSizesFree+1]      // coord1 < size1
s_and_b64 s[42:43], s[38:39], s[40:41]             // in0 && in1
_v_add_co_u32 v12, vcc, v2, v8                     // addrVgpr = D + index*bytes (lo)
_v_addc_co_u32 v13, vcc, v3, v9, vcc               // addrVgpr = D + index*bytes (hi)
v_accvgpr_read_b32 v[vgprValuC+14], acc12 // copy acc to vreg[18]
v_accvgpr_read_b32 v[vgprValuC+15], acc13 // copy acc to vreg[19]
s_nop 1                                            // 2 wait states required before reading vgpr

/* rC *= alpha batchElements=[(2, 1, 0, 0)] */
v_mul_f64 v[vgprValuC+14:vgprValuC+14+1], s[sgprAlpha:sgprAlpha+1], v[vgprValuC+14:vgprValuC+14+1] // *= alpha

/* apply mask, calc new C and issue writes */
s_mov_b64 exec, s[42:43]                           // sgprs -> exec
_global_store_b64 v[12:13], v[14:15], off,  sc0 sc1 // store D
s_mov_b64 exec, -1                                 // full mask -> exec
s_nop 0                                            // 1 wait state required when next inst writes vgprs held by previous dwordx4 store inst
/* optSingleColVgpr=0 optSharedColVgpr=0 optSGPRUsage=None optSrdIncForRow=0 */
s_sleep 7 // optimization: sync and wait
s_barrier

/******************************************/
/* Global Write Alpha Edge Batch #10 (d1,d0,vc1,vc0) = */
/*    (2,2,0,0:vw1)                       */
/******************************************/

/* calc coords, apply mask, and issue loads (if necessary) */
/* (d1,vc1,d0,vc0)=(2,0,2,0) */
_v_add_co_u32 v6, vcc, v0, 32                      // coord0.1: coord0 += d0*sg0*VW + vc0
GLOBAL_OFFSET_D 12, 6, 1, sgprWorkGroup2, 8
v_mov_b32 v8, v12                                  // temp store offset 0
v_mov_b32 v9, v13                                  // temp store offset 1
v_cmp_lt_u32 s[38:39], v6, s[sgprSizesFree+0]      // coord0 < size0
v_cmp_lt_u32 s[40:41], v1, s[sgprSizesFree+1]      // coord1 < size1
s_and_b64 s[42:43], s[38:39], s[40:41]             // in0 && in1
_v_add_co_u32 v12, vcc, v2, v8                     // addrVgpr = D + index*bytes (lo)
_v_addc_co_u32 v13, vcc, v3, v9, vcc               // addrVgpr = D + index*bytes (hi)
v_accvgpr_read_b32 v[vgprValuC+14], acc20 // copy acc to vreg[20]
v_accvgpr_read_b32 v[vgprValuC+15], acc21 // copy acc to vreg[21]
s_nop 1                                            // 2 wait states required before reading vgpr

/* rC *= alpha batchElements=[(2, 2, 0, 0)] */
v_mul_f64 v[vgprValuC+14:vgprValuC+14+1], s[sgprAlpha:sgprAlpha+1], v[vgprValuC+14:vgprValuC+14+1] // *= alpha

/* apply mask, calc new C and issue writes */
s_mov_b64 exec, s[42:43]                           // sgprs -> exec
_global_store_b64 v[12:13], v[14:15], off,  sc0 sc1 // store D
s_mov_b64 exec, -1                                 // full mask -> exec
s_nop 0                                            // 1 wait state required when next inst writes vgprs held by previous dwordx4 store inst
/* optSingleColVgpr=0 optSharedColVgpr=0 optSGPRUsage=None optSrdIncForRow=0 */
s_sleep 7 // optimization: sync and wait
s_barrier

/******************************************/
/* Global Write Alpha Edge Batch #11 (d1,d0,vc1,vc0) = */
/*    (2,3,0,0:vw1)                       */
/******************************************/

/* calc coords, apply mask, and issue loads (if necessary) */
/* (d1,vc1,d0,vc0)=(2,0,3,0) */
_v_add_co_u32 v6, vcc, v0, 48                      // coord0.1: coord0 += d0*sg0*VW + vc0
GLOBAL_OFFSET_D 12, 6, 1, sgprWorkGroup2, 8
v_mov_b32 v8, v12                                  // temp store offset 0
v_mov_b32 v9, v13                                  // temp store offset 1
v_cmp_lt_u32 s[38:39], v6, s[sgprSizesFree+0]      // coord0 < size0
v_cmp_lt_u32 s[40:41], v1, s[sgprSizesFree+1]      // coord1 < size1
s_and_b64 s[42:43], s[38:39], s[40:41]             // in0 && in1
_v_add_co_u32 v12, vcc, v2, v8                     // addrVgpr = D + index*bytes (lo)
_v_addc_co_u32 v13, vcc, v3, v9, vcc               // addrVgpr = D + index*bytes (hi)
v_accvgpr_read_b32 v[vgprValuC+14], acc28 // copy acc to vreg[22]
v_accvgpr_read_b32 v[vgprValuC+15], acc29 // copy acc to vreg[23]
s_nop 1                                            // 2 wait states required before reading vgpr

/* rC *= alpha batchElements=[(2, 3, 0, 0)] */
v_mul_f64 v[vgprValuC+14:vgprValuC+14+1], s[sgprAlpha:sgprAlpha+1], v[vgprValuC+14:vgprValuC+14+1] // *= alpha

/* apply mask, calc new C and issue writes */
s_mov_b64 exec, s[42:43]                           // sgprs -> exec
_global_store_b64 v[12:13], v[14:15], off,  sc0 sc1 // store D
s_mov_b64 exec, -1                                 // full mask -> exec
s_nop 0                                            // 1 wait state required when next inst writes vgprs held by previous dwordx4 store inst
/* optSingleColVgpr=0 optSharedColVgpr=0 optSGPRUsage=None optSrdIncForRow=0 */
s_sleep 7 // optimization: sync and wait
s_barrier

/******************************************/
/* Global Write Alpha Edge Batch #12 (d1,d0,vc1,vc0) = */
/*    (3,0,0,0:vw1)                       */
/******************************************/

/* calc coords, apply mask, and issue loads (if necessary) */
/* (d1,vc1,d0,vc0)=(3,0,0,0) */
_v_add_co_u32 v1, vcc, v1, 4                       // coord1.1: coord1Vgpr += d1*sg1*VW + vc1
GLOBAL_OFFSET_D 12, 0, 1, sgprWorkGroup2, 8
v_mov_b32 v8, v12                                  // temp store offset 0
v_mov_b32 v9, v13                                  // temp store offset 1
v_cmp_lt_u32 s[38:39], v0, s[sgprSizesFree+0]      // coord0 < size0
v_cmp_lt_u32 s[40:41], v1, s[sgprSizesFree+1]      // coord1 < size1
s_and_b64 s[42:43], s[38:39], s[40:41]             // in0 && in1
_v_add_co_u32 v12, vcc, v2, v8                     // addrVgpr = D + index*bytes (lo)
_v_addc_co_u32 v13, vcc, v3, v9, vcc               // addrVgpr = D + index*bytes (hi)
v_accvgpr_read_b32 v[vgprValuC+14], acc6 // copy acc to vreg[24]
v_accvgpr_read_b32 v[vgprValuC+15], acc7 // copy acc to vreg[25]
s_nop 1                                            // 2 wait states required before reading vgpr

/* rC *= alpha batchElements=[(3, 0, 0, 0)] */
v_mul_f64 v[vgprValuC+14:vgprValuC+14+1], s[sgprAlpha:sgprAlpha+1], v[vgprValuC+14:vgprValuC+14+1] // *= alpha

/* apply mask, calc new C and issue writes */
s_mov_b64 exec, s[42:43]                           // sgprs -> exec
_global_store_b64 v[12:13], v[14:15], off,  sc0 sc1 // store D
s_mov_b64 exec, -1                                 // full mask -> exec
s_nop 0                                            // 1 wait state required when next inst writes vgprs held by previous dwordx4 store inst
/* optSingleColVgpr=0 optSharedColVgpr=0 optSGPRUsage=None optSrdIncForRow=0 */
s_sleep 7 // optimization: sync and wait
s_barrier

/******************************************/
/* Global Write Alpha Edge Batch #13 (d1,d0,vc1,vc0) = */
/*    (3,1,0,0:vw1)                       */
/******************************************/

/* calc coords, apply mask, and issue loads (if necessary) */
/* (d1,vc1,d0,vc0)=(3,0,1,0) */
_v_add_co_u32 v6, vcc, v0, 16                      // coord0.1: coord0 += d0*sg0*VW + vc0
GLOBAL_OFFSET_D 12, 6, 1, sgprWorkGroup2, 8
v_mov_b32 v8, v12                                  // temp store offset 0
v_mov_b32 v9, v13                                  // temp store offset 1
v_cmp_lt_u32 s[38:39], v6, s[sgprSizesFree+0]      // coord0 < size0
v_cmp_lt_u32 s[40:41], v1, s[sgprSizesFree+1]      // coord1 < size1
s_and_b64 s[42:43], s[38:39], s[40:41]             // in0 && in1
_v_add_co_u32 v12, vcc, v2, v8                     // addrVgpr = D + index*bytes (lo)
_v_addc_co_u32 v13, vcc, v3, v9, vcc               // addrVgpr = D + index*bytes (hi)
v_accvgpr_read_b32 v[vgprValuC+14], acc14 // copy acc to vreg[26]
v_accvgpr_read_b32 v[vgprValuC+15], acc15 // copy acc to vreg[27]
s_nop 1                                            // 2 wait states required before reading vgpr

/* rC *= alpha batchElements=[(3, 1, 0, 0)] */
v_mul_f64 v[vgprValuC+14:vgprValuC+14+1], s[sgprAlpha:sgprAlpha+1], v[vgprValuC+14:vgprValuC+14+1] // *= alpha

/* apply mask, calc new C and issue writes */
s_mov_b64 exec, s[42:43]                           // sgprs -> exec
_global_store_b64 v[12:13], v[14:15], off,  sc0 sc1 // store D
s_mov_b64 exec, -1                                 // full mask -> exec
s_nop 0                                            // 1 wait state required when next inst writes vgprs held by previous dwordx4 store inst
/* optSingleColVgpr=0 optSharedColVgpr=0 optSGPRUsage=None optSrdIncForRow=0 */
s_sleep 7 // optimization: sync and wait
s_barrier

/******************************************/
/* Global Write Alpha Edge Batch #14 (d1,d0,vc1,vc0) = */
/*    (3,2,0,0:vw1)                       */
/******************************************/

/* calc coords, apply mask, and issue loads (if necessary) */
/* (d1,vc1,d0,vc0)=(3,0,2,0) */
_v_add_co_u32 v6, vcc, v0, 32                      // coord0.1: coord0 += d0*sg0*VW + vc0
GLOBAL_OFFSET_D 12, 6, 1, sgprWorkGroup2, 8
v_mov_b32 v8, v12                                  // temp store offset 0
v_mov_b32 v9, v13                                  // temp store offset 1
v_cmp_lt_u32 s[38:39], v6, s[sgprSizesFree+0]      // coord0 < size0
v_cmp_lt_u32 s[40:41], v1, s[sgprSizesFree+1]      // coord1 < size1
s_and_b64 s[42:43], s[38:39], s[40:41]             // in0 && in1
_v_add_co_u32 v12, vcc, v2, v8                     // addrVgpr = D + index*bytes (lo)
_v_addc_co_u32 v13, vcc, v3, v9, vcc               // addrVgpr = D + index*bytes (hi)
v_accvgpr_read_b32 v[vgprValuC+14], acc22 // copy acc to vreg[28]
v_accvgpr_read_b32 v[vgprValuC+15], acc23 // copy acc to vreg[29]
s_nop 1                                            // 2 wait states required before reading vgpr

/* rC *= alpha batchElements=[(3, 2, 0, 0)] */
v_mul_f64 v[vgprValuC+14:vgprValuC+14+1], s[sgprAlpha:sgprAlpha+1], v[vgprValuC+14:vgprValuC+14+1] // *= alpha

/* apply mask, calc new C and issue writes */
s_mov_b64 exec, s[42:43]                           // sgprs -> exec
_global_store_b64 v[12:13], v[14:15], off,  sc0 sc1 // store D
s_mov_b64 exec, -1                                 // full mask -> exec
s_nop 0                                            // 1 wait state required when next inst writes vgprs held by previous dwordx4 store inst
/* optSingleColVgpr=0 optSharedColVgpr=0 optSGPRUsage=None optSrdIncForRow=0 */
s_sleep 7 // optimization: sync and wait
s_barrier

/******************************************/
/* Global Write Alpha Edge Batch #15 (d1,d0,vc1,vc0) = */
/*    (3,3,0,0:vw1)                       */
/******************************************/

/* calc coords, apply mask, and issue loads (if necessary) */
/* (d1,vc1,d0,vc0)=(3,0,3,0) */
_v_add_co_u32 v6, vcc, v0, 48                      // coord0.1: coord0 += d0*sg0*VW + vc0
GLOBAL_OFFSET_D 12, 6, 1, sgprWorkGroup2, 8
v_mov_b32 v8, v12                                  // temp store offset 0
v_mov_b32 v9, v13                                  // temp store offset 1
v_cmp_lt_u32 s[38:39], v6, s[sgprSizesFree+0]      // coord0 < size0
v_cmp_lt_u32 s[40:41], v1, s[sgprSizesFree+1]      // coord1 < size1
s_and_b64 s[42:43], s[38:39], s[40:41]             // in0 && in1
_v_add_co_u32 v12, vcc, v2, v8                     // addrVgpr = D + index*bytes (lo)
_v_addc_co_u32 v13, vcc, v3, v9, vcc               // addrVgpr = D + index*bytes (hi)
v_accvgpr_read_b32 v[vgprValuC+14], acc30 // copy acc to vreg[30]
v_accvgpr_read_b32 v[vgprValuC+15], acc31 // copy acc to vreg[31]
s_nop 1                                            // 2 wait states required before reading vgpr

/* rC *= alpha batchElements=[(3, 3, 0, 0)] */
v_mul_f64 v[vgprValuC+14:vgprValuC+14+1], s[sgprAlpha:sgprAlpha+1], v[vgprValuC+14:vgprValuC+14+1] // *= alpha

/* apply mask, calc new C and issue writes */
s_mov_b64 exec, s[42:43]                           // sgprs -> exec
_global_store_b64 v[12:13], v[14:15], off,  sc0 sc1 // store D
s_mov_b64 exec, -1                                 // full mask -> exec
s_nop 0                                            // 1 wait state required when next inst writes vgprs held by previous dwordx4 store inst
/* optSingleColVgpr=0 optSharedColVgpr=0 optSGPRUsage=None optSrdIncForRow=0 */
s_sleep 7 // optimization: sync and wait
s_barrier

/******************************************/
/* Global Write Alpha Edge Batch #16 (d1,d0,vc1,vc0) = */
/*    (4,0,0,0:vw1)                       */
/******************************************/

/* calc coords, apply mask, and issue loads (if necessary) */
/* (d1,vc1,d0,vc0)=(4,0,0,0) */
_v_add_co_u32 v1, vcc, v1, 52                      // coord1.1: coord1Vgpr += d1*sg1*VW + vc1
GLOBAL_OFFSET_D 12, 0, 1, sgprWorkGroup2, 8
v_mov_b32 v8, v12                                  // temp store offset 0
v_mov_b32 v9, v13                                  // temp store offset 1
v_cmp_lt_u32 s[38:39], v0, s[sgprSizesFree+0]      // coord0 < size0
v_cmp_lt_u32 s[40:41], v1, s[sgprSizesFree+1]      // coord1 < size1
s_and_b64 s[42:43], s[38:39], s[40:41]             // in0 && in1
_v_add_co_u32 v12, vcc, v2, v8                     // addrVgpr = D + index*bytes (lo)
_v_addc_co_u32 v13, vcc, v3, v9, vcc               // addrVgpr = D + index*bytes (hi)
v_accvgpr_read_b32 v[vgprValuC+14], acc32 // copy acc to vreg[32]
v_accvgpr_read_b32 v[vgprValuC+15], acc33 // copy acc to vreg[33]
s_nop 1                                            // 2 wait states required before reading vgpr

/* rC *= alpha batchElements=[(4, 0, 0, 0)] */
v_mul_f64 v[vgprValuC+14:vgprValuC+14+1], s[sgprAlpha:sgprAlpha+1], v[vgprValuC+14:vgprValuC+14+1] // *= alpha

/* apply mask, calc new C and issue writes */
s_mov_b64 exec, s[42:43]                           // sgprs -> exec
_global_store_b64 v[12:13], v[14:15], off,  sc0 sc1 // store D
s_mov_b64 exec, -1                                 // full mask -> exec
s_nop 0                                            // 1 wait state required when next inst writes vgprs held by previous dwordx4 store inst
/* optSingleColVgpr=0 optSharedColVgpr=0 optSGPRUsage=None optSrdIncForRow=0 */
s_sleep 7 // optimization: sync and wait
s_barrier

/******************************************/
/* Global Write Alpha Edge Batch #17 (d1,d0,vc1,vc0) = */
/*    (4,1,0,0:vw1)                       */
/******************************************/

/* calc coords, apply mask, and issue loads (if necessary) */
/* (d1,vc1,d0,vc0)=(4,0,1,0) */
_v_add_co_u32 v6, vcc, v0, 16                      // coord0.1: coord0 += d0*sg0*VW + vc0
GLOBAL_OFFSET_D 12, 6, 1, sgprWorkGroup2, 8
v_mov_b32 v8, v12                                  // temp store offset 0
v_mov_b32 v9, v13                                  // temp store offset 1
v_cmp_lt_u32 s[38:39], v6, s[sgprSizesFree+0]      // coord0 < size0
v_cmp_lt_u32 s[40:41], v1, s[sgprSizesFree+1]      // coord1 < size1
s_and_b64 s[42:43], s[38:39], s[40:41]             // in0 && in1
_v_add_co_u32 v12, vcc, v2, v8                     // addrVgpr = D + index*bytes (lo)
_v_addc_co_u32 v13, vcc, v3, v9, vcc               // addrVgpr = D + index*bytes (hi)
v_accvgpr_read_b32 v[vgprValuC+14], acc40 // copy acc to vreg[34]
v_accvgpr_read_b32 v[vgprValuC+15], acc41 // copy acc to vreg[35]
s_nop 1                                            // 2 wait states required before reading vgpr

/* rC *= alpha batchElements=[(4, 1, 0, 0)] */
v_mul_f64 v[vgprValuC+14:vgprValuC+14+1], s[sgprAlpha:sgprAlpha+1], v[vgprValuC+14:vgprValuC+14+1] // *= alpha

/* apply mask, calc new C and issue writes */
s_mov_b64 exec, s[42:43]                           // sgprs -> exec
_global_store_b64 v[12:13], v[14:15], off,  sc0 sc1 // store D
s_mov_b64 exec, -1                                 // full mask -> exec
s_nop 0                                            // 1 wait state required when next inst writes vgprs held by previous dwordx4 store inst
/* optSingleColVgpr=0 optSharedColVgpr=0 optSGPRUsage=None optSrdIncForRow=0 */
s_sleep 7 // optimization: sync and wait
s_barrier

/******************************************/
/* Global Write Alpha Edge Batch #18 (d1,d0,vc1,vc0) = */
/*    (4,2,0,0:vw1)                       */
/******************************************/

/* calc coords, apply mask, and issue loads (if necessary) */
/* (d1,vc1,d0,vc0)=(4,0,2,0) */
_v_add_co_u32 v6, vcc, v0, 32                      // coord0.1: coord0 += d0*sg0*VW + vc0
GLOBAL_OFFSET_D 12, 6, 1, sgprWorkGroup2, 8
v_mov_b32 v8, v12                                  // temp store offset 0
v_mov_b32 v9, v13                                  // temp store offset 1
v_cmp_lt_u32 s[38:39], v6, s[sgprSizesFree+0]      // coord0 < size0
v_cmp_lt_u32 s[40:41], v1, s[sgprSizesFree+1]      // coord1 < size1
s_and_b64 s[42:43], s[38:39], s[40:41]             // in0 && in1
_v_add_co_u32 v12, vcc, v2, v8                     // addrVgpr = D + index*bytes (lo)
_v_addc_co_u32 v13, vcc, v3, v9, vcc               // addrVgpr = D + index*bytes (hi)
v_accvgpr_read_b32 v[vgprValuC+14], acc48 // copy acc to vreg[36]
v_accvgpr_read_b32 v[vgprValuC+15], acc49 // copy acc to vreg[37]
s_nop 1                                            // 2 wait states required before reading vgpr

/* rC *= alpha batchElements=[(4, 2, 0, 0)] */
v_mul_f64 v[vgprValuC+14:vgprValuC+14+1], s[sgprAlpha:sgprAlpha+1], v[vgprValuC+14:vgprValuC+14+1] // *= alpha

/* apply mask, calc new C and issue writes */
s_mov_b64 exec, s[42:43]                           // sgprs -> exec
_global_store_b64 v[12:13], v[14:15], off,  sc0 sc1 // store D
s_mov_b64 exec, -1                                 // full mask -> exec
s_nop 0                                            // 1 wait state required when next inst writes vgprs held by previous dwordx4 store inst
/* optSingleColVgpr=0 optSharedColVgpr=0 optSGPRUsage=None optSrdIncForRow=0 */
s_sleep 7 // optimization: sync and wait
s_barrier

/******************************************/
/* Global Write Alpha Edge Batch #19 (d1,d0,vc1,vc0) = */
/*    (4,3,0,0:vw1)                       */
/******************************************/

/* calc coords, apply mask, and issue loads (if necessary) */
/* (d1,vc1,d0,vc0)=(4,0,3,0) */
_v_add_co_u32 v6, vcc, v0, 48                      // coord0.1: coord0 += d0*sg0*VW + vc0
GLOBAL_OFFSET_D 12, 6, 1, sgprWorkGroup2, 8
v_mov_b32 v8, v12                                  // temp store offset 0
v_mov_b32 v9, v13                                  // temp store offset 1
v_cmp_lt_u32 s[38:39], v6, s[sgprSizesFree+0]      // coord0 < size0
v_cmp_lt_u32 s[40:41], v1, s[sgprSizesFree+1]      // coord1 < size1
s_and_b64 s[42:43], s[38:39], s[40:41]             // in0 && in1
_v_add_co_u32 v12, vcc, v2, v8                     // addrVgpr = D + index*bytes (lo)
_v_addc_co_u32 v13, vcc, v3, v9, vcc               // addrVgpr = D + index*bytes (hi)
v_accvgpr_read_b32 v[vgprValuC+14], acc56 // copy acc to vreg[38]
v_accvgpr_read_b32 v[vgprValuC+15], acc57 // copy acc to vreg[39]
s_nop 1                                            // 2 wait states required before reading vgpr

/* rC *= alpha batchElements=[(4, 3, 0, 0)] */
v_mul_f64 v[vgprValuC+14:vgprValuC+14+1], s[sgprAlpha:sgprAlpha+1], v[vgprValuC+14:vgprValuC+14+1] // *= alpha

/* apply mask, calc new C and issue writes */
s_mov_b64 exec, s[42:43]                           // sgprs -> exec
_global_store_b64 v[12:13], v[14:15], off,  sc0 sc1 // store D
s_mov_b64 exec, -1                                 // full mask -> exec
s_nop 0                                            // 1 wait state required when next inst writes vgprs held by previous dwordx4 store inst
/* optSingleColVgpr=0 optSharedColVgpr=0 optSGPRUsage=None optSrdIncForRow=0 */
s_sleep 7 // optimization: sync and wait
s_barrier

/******************************************/
/* Global Write Alpha Edge Batch #20 (d1,d0,vc1,vc0) = */
/*    (5,0,0,0:vw1)                       */
/******************************************/

/* calc coords, apply mask, and issue loads (if necessary) */
/* (d1,vc1,d0,vc0)=(5,0,0,0) */
_v_add_co_u32 v1, vcc, v1, 4                       // coord1.1: coord1Vgpr += d1*sg1*VW + vc1
GLOBAL_OFFSET_D 12, 0, 1, sgprWorkGroup2, 8
v_mov_b32 v8, v12                                  // temp store offset 0
v_mov_b32 v9, v13                                  // temp store offset 1
v_cmp_lt_u32 s[38:39], v0, s[sgprSizesFree+0]      // coord0 < size0
v_cmp_lt_u32 s[40:41], v1, s[sgprSizesFree+1]      // coord1 < size1
s_and_b64 s[42:43], s[38:39], s[40:41]             // in0 && in1
_v_add_co_u32 v12, vcc, v2, v8                     // addrVgpr = D + index*bytes (lo)
_v_addc_co_u32 v13, vcc, v3, v9, vcc               // addrVgpr = D + index*bytes (hi)
v_accvgpr_read_b32 v[vgprValuC+14], acc34 // copy acc to vreg[40]
v_accvgpr_read_b32 v[vgprValuC+15], acc35 // copy acc to vreg[41]
s_nop 1                                            // 2 wait states required before reading vgpr

/* rC *= alpha batchElements=[(5, 0, 0, 0)] */
v_mul_f64 v[vgprValuC+14:vgprValuC+14+1], s[sgprAlpha:sgprAlpha+1], v[vgprValuC+14:vgprValuC+14+1] // *= alpha

/* apply mask, calc new C and issue writes */
s_mov_b64 exec, s[42:43]                           // sgprs -> exec
_global_store_b64 v[12:13], v[14:15], off,  sc0 sc1 // store D
s_mov_b64 exec, -1                                 // full mask -> exec
s_nop 0                                            // 1 wait state required when next inst writes vgprs held by previous dwordx4 store inst
/* optSingleColVgpr=0 optSharedColVgpr=0 optSGPRUsage=None optSrdIncForRow=0 */
s_sleep 7 // optimization: sync and wait
s_barrier

/******************************************/
/* Global Write Alpha Edge Batch #21 (d1,d0,vc1,vc0) = */
/*    (5,1,0,0:vw1)                       */
/******************************************/

/* calc coords, apply mask, and issue loads (if necessary) */
/* (d1,vc1,d0,vc0)=(5,0,1,0) */
_v_add_co_u32 v6, vcc, v0, 16                      // coord0.1: coord0 += d0*sg0*VW + vc0
GLOBAL_OFFSET_D 12, 6, 1, sgprWorkGroup2, 8
v_mov_b32 v8, v12                                  // temp store offset 0
v_mov_b32 v9, v13                                  // temp store offset 1
v_cmp_lt_u32 s[38:39], v6, s[sgprSizesFree+0]      // coord0 < size0
v_cmp_lt_u32 s[40:41], v1, s[sgprSizesFree+1]      // coord1 < size1
s_and_b64 s[42:43], s[38:39], s[40:41]             // in0 && in1
_v_add_co_u32 v12, vcc, v2, v8                     // addrVgpr = D + index*bytes (lo)
_v_addc_co_u32 v13, vcc, v3, v9, vcc               // addrVgpr = D + index*bytes (hi)
v_accvgpr_read_b32 v[vgprValuC+14], acc42 // copy acc to vreg[42]
v_accvgpr_read_b32 v[vgprValuC+15], acc43 // copy acc to vreg[43]
s_nop 1                                            // 2 wait states required before reading vgpr

/* rC *= alpha batchElements=[(5, 1, 0, 0)] */
v_mul_f64 v[vgprValuC+14:vgprValuC+14+1], s[sgprAlpha:sgprAlpha+1], v[vgprValuC+14:vgprValuC+14+1] // *= alpha

/* apply mask, calc new C and issue writes */
s_mov_b64 exec, s[42:43]                           // sgprs -> exec
_global_store_b64 v[12:13], v[14:15], off,  sc0 sc1 // store D
s_mov_b64 exec, -1                                 // full mask -> exec
s_nop 0                                            // 1 wait state required when next inst writes vgprs held by previous dwordx4 store inst
/* optSingleColVgpr=0 optSharedColVgpr=0 optSGPRUsage=None optSrdIncForRow=0 */
s_sleep 7 // optimization: sync and wait
s_barrier

/******************************************/
/* Global Write Alpha Edge Batch #22 (d1,d0,vc1,vc0) = */
/*    (5,2,0,0:vw1)                       */
/******************************************/

/* calc coords, apply mask, and issue loads (if necessary) */
/* (d1,vc1,d0,vc0)=(5,0,2,0) */
_v_add_co_u32 v6, vcc, v0, 32                      // coord0.1: coord0 += d0*sg0*VW + vc0
GLOBAL_OFFSET_D 12, 6, 1, sgprWorkGroup2, 8
v_mov_b32 v8, v12                                  // temp store offset 0
v_mov_b32 v9, v13                                  // temp store offset 1
v_cmp_lt_u32 s[38:39], v6, s[sgprSizesFree+0]      // coord0 < size0
v_cmp_lt_u32 s[40:41], v1, s[sgprSizesFree+1]      // coord1 < size1
s_and_b64 s[42:43], s[38:39], s[40:41]             // in0 && in1
_v_add_co_u32 v12, vcc, v2, v8                     // addrVgpr = D + index*bytes (lo)
_v_addc_co_u32 v13, vcc, v3, v9, vcc               // addrVgpr = D + index*bytes (hi)
v_accvgpr_read_b32 v[vgprValuC+14], acc50 // copy acc to vreg[44]
v_accvgpr_read_b32 v[vgprValuC+15], acc51 // copy acc to vreg[45]
s_nop 1                                            // 2 wait states required before reading vgpr

/* rC *= alpha batchElements=[(5, 2, 0, 0)] */
v_mul_f64 v[vgprValuC+14:vgprValuC+14+1], s[sgprAlpha:sgprAlpha+1], v[vgprValuC+14:vgprValuC+14+1] // *= alpha

/* apply mask, calc new C and issue writes */
s_mov_b64 exec, s[42:43]                           // sgprs -> exec
_global_store_b64 v[12:13], v[14:15], off,  sc0 sc1 // store D
s_mov_b64 exec, -1                                 // full mask -> exec
s_nop 0                                            // 1 wait state required when next inst writes vgprs held by previous dwordx4 store inst
/* optSingleColVgpr=0 optSharedColVgpr=0 optSGPRUsage=None optSrdIncForRow=0 */
s_sleep 7 // optimization: sync and wait
s_barrier

/******************************************/
/* Global Write Alpha Edge Batch #23 (d1,d0,vc1,vc0) = */
/*    (5,3,0,0:vw1)                       */
/******************************************/

/* calc coords, apply mask, and issue loads (if necessary) */
/* (d1,vc1,d0,vc0)=(5,0,3,0) */
_v_add_co_u32 v6, vcc, v0, 48                      // coord0.1: coord0 += d0*sg0*VW + vc0
GLOBAL_OFFSET_D 12, 6, 1, sgprWorkGroup2, 8
v_mov_b32 v8, v12                                  // temp store offset 0
v_mov_b32 v9, v13                                  // temp store offset 1
v_cmp_lt_u32 s[38:39], v6, s[sgprSizesFree+0]      // coord0 < size0
v_cmp_lt_u32 s[40:41], v1, s[sgprSizesFree+1]      // coord1 < size1
s_and_b64 s[42:43], s[38:39], s[40:41]             // in0 && in1
_v_add_co_u32 v12, vcc, v2, v8                     // addrVgpr = D + index*bytes (lo)
_v_addc_co_u32 v13, vcc, v3, v9, vcc               // addrVgpr = D + index*bytes (hi)
v_accvgpr_read_b32 v[vgprValuC+14], acc58 // copy acc to vreg[46]
v_accvgpr_read_b32 v[vgprValuC+15], acc59 // copy acc to vreg[47]
s_nop 1                                            // 2 wait states required before reading vgpr

/* rC *= alpha batchElements=[(5, 3, 0, 0)] */
v_mul_f64 v[vgprValuC+14:vgprValuC+14+1], s[sgprAlpha:sgprAlpha+1], v[vgprValuC+14:vgprValuC+14+1] // *= alpha

/* apply mask, calc new C and issue writes */
s_mov_b64 exec, s[42:43]                           // sgprs -> exec
_global_store_b64 v[12:13], v[14:15], off,  sc0 sc1 // store D
s_mov_b64 exec, -1                                 // full mask -> exec
s_nop 0                                            // 1 wait state required when next inst writes vgprs held by previous dwordx4 store inst
/* optSingleColVgpr=0 optSharedColVgpr=0 optSGPRUsage=None optSrdIncForRow=0 */
s_sleep 7 // optimization: sync and wait
s_barrier

/******************************************/
/* Global Write Alpha Edge Batch #24 (d1,d0,vc1,vc0) = */
/*    (6,0,0,0:vw1)                       */
/******************************************/

/* calc coords, apply mask, and issue loads (if necessary) */
/* (d1,vc1,d0,vc0)=(6,0,0,0) */
_v_add_co_u32 v1, vcc, v1, 4                       // coord1.1: coord1Vgpr += d1*sg1*VW + vc1
GLOBAL_OFFSET_D 12, 0, 1, sgprWorkGroup2, 8
v_mov_b32 v8, v12                                  // temp store offset 0
v_mov_b32 v9, v13                                  // temp store offset 1
v_cmp_lt_u32 s[38:39], v0, s[sgprSizesFree+0]      // coord0 < size0
v_cmp_lt_u32 s[40:41], v1, s[sgprSizesFree+1]      // coord1 < size1
s_and_b64 s[42:43], s[38:39], s[40:41]             // in0 && in1
_v_add_co_u32 v12, vcc, v2, v8                     // addrVgpr = D + index*bytes (lo)
_v_addc_co_u32 v13, vcc, v3, v9, vcc               // addrVgpr = D + index*bytes (hi)
v_accvgpr_read_b32 v[vgprValuC+14], acc36 // copy acc to vreg[48]
v_accvgpr_read_b32 v[vgprValuC+15], acc37 // copy acc to vreg[49]
s_nop 1                                            // 2 wait states required before reading vgpr

/* rC *= alpha batchElements=[(6, 0, 0, 0)] */
v_mul_f64 v[vgprValuC+14:vgprValuC+14+1], s[sgprAlpha:sgprAlpha+1], v[vgprValuC+14:vgprValuC+14+1] // *= alpha

/* apply mask, calc new C and issue writes */
s_mov_b64 exec, s[42:43]                           // sgprs -> exec
_global_store_b64 v[12:13], v[14:15], off,  sc0 sc1 // store D
s_mov_b64 exec, -1                                 // full mask -> exec
s_nop 0                                            // 1 wait state required when next inst writes vgprs held by previous dwordx4 store inst
/* optSingleColVgpr=0 optSharedColVgpr=0 optSGPRUsage=None optSrdIncForRow=0 */
s_sleep 7 // optimization: sync and wait
s_barrier

/******************************************/
/* Global Write Alpha Edge Batch #25 (d1,d0,vc1,vc0) = */
/*    (6,1,0,0:vw1)                       */
/******************************************/

/* calc coords, apply mask, and issue loads (if necessary) */
/* (d1,vc1,d0,vc0)=(6,0,1,0) */
_v_add_co_u32 v6, vcc, v0, 16                      // coord0.1: coord0 += d0*sg0*VW + vc0
GLOBAL_OFFSET_D 12, 6, 1, sgprWorkGroup2, 8
v_mov_b32 v8, v12                                  // temp store offset 0
v_mov_b32 v9, v13                                  // temp store offset 1
v_cmp_lt_u32 s[38:39], v6, s[sgprSizesFree+0]      // coord0 < size0
v_cmp_lt_u32 s[40:41], v1, s[sgprSizesFree+1]      // coord1 < size1
s_and_b64 s[42:43], s[38:39], s[40:41]             // in0 && in1
_v_add_co_u32 v12, vcc, v2, v8                     // addrVgpr = D + index*bytes (lo)
_v_addc_co_u32 v13, vcc, v3, v9, vcc               // addrVgpr = D + index*bytes (hi)
v_accvgpr_read_b32 v[vgprValuC+14], acc44 // copy acc to vreg[50]
v_accvgpr_read_b32 v[vgprValuC+15], acc45 // copy acc to vreg[51]
s_nop 1                                            // 2 wait states required before reading vgpr

/* rC *= alpha batchElements=[(6, 1, 0, 0)] */
v_mul_f64 v[vgprValuC+14:vgprValuC+14+1], s[sgprAlpha:sgprAlpha+1], v[vgprValuC+14:vgprValuC+14+1] // *= alpha

/* apply mask, calc new C and issue writes */
s_mov_b64 exec, s[42:43]                           // sgprs -> exec
_global_store_b64 v[12:13], v[14:15], off,  sc0 sc1 // store D
s_mov_b64 exec, -1                                 // full mask -> exec
s_nop 0                                            // 1 wait state required when next inst writes vgprs held by previous dwordx4 store inst
/* optSingleColVgpr=0 optSharedColVgpr=0 optSGPRUsage=None optSrdIncForRow=0 */
s_sleep 7 // optimization: sync and wait
s_barrier

/******************************************/
/* Global Write Alpha Edge Batch #26 (d1,d0,vc1,vc0) = */
/*    (6,2,0,0:vw1)                       */
/******************************************/

/* calc coords, apply mask, and issue loads (if necessary) */
/* (d1,vc1,d0,vc0)=(6,0,2,0) */
_v_add_co_u32 v6, vcc, v0, 32                      // coord0.1: coord0 += d0*sg0*VW + vc0
GLOBAL_OFFSET_D 12, 6, 1, sgprWorkGroup2, 8
v_mov_b32 v8, v12                                  // temp store offset 0
v_mov_b32 v9, v13                                  // temp store offset 1
v_cmp_lt_u32 s[38:39], v6, s[sgprSizesFree+0]      // coord0 < size0
v_cmp_lt_u32 s[40:41], v1, s[sgprSizesFree+1]      // coord1 < size1
s_and_b64 s[42:43], s[38:39], s[40:41]             // in0 && in1
_v_add_co_u32 v12, vcc, v2, v8                     // addrVgpr = D + index*bytes (lo)
_v_addc_co_u32 v13, vcc, v3, v9, vcc               // addrVgpr = D + index*bytes (hi)
v_accvgpr_read_b32 v[vgprValuC+14], acc52 // copy acc to vreg[52]
v_accvgpr_read_b32 v[vgprValuC+15], acc53 // copy acc to vreg[53]
s_nop 1                                            // 2 wait states required before reading vgpr

/* rC *= alpha batchElements=[(6, 2, 0, 0)] */
v_mul_f64 v[vgprValuC+14:vgprValuC+14+1], s[sgprAlpha:sgprAlpha+1], v[vgprValuC+14:vgprValuC+14+1] // *= alpha

/* apply mask, calc new C and issue writes */
s_mov_b64 exec, s[42:43]                           // sgprs -> exec
_global_store_b64 v[12:13], v[14:15], off,  sc0 sc1 // store D
s_mov_b64 exec, -1                                 // full mask -> exec
s_nop 0                                            // 1 wait state required when next inst writes vgprs held by previous dwordx4 store inst
/* optSingleColVgpr=0 optSharedColVgpr=0 optSGPRUsage=None optSrdIncForRow=0 */
s_sleep 7 // optimization: sync and wait
s_barrier

/******************************************/
/* Global Write Alpha Edge Batch #27 (d1,d0,vc1,vc0) = */
/*    (6,3,0,0:vw1)                       */
/******************************************/

/* calc coords, apply mask, and issue loads (if necessary) */
/* (d1,vc1,d0,vc0)=(6,0,3,0) */
_v_add_co_u32 v6, vcc, v0, 48                      // coord0.1: coord0 += d0*sg0*VW + vc0
GLOBAL_OFFSET_D 12, 6, 1, sgprWorkGroup2, 8
v_mov_b32 v8, v12                                  // temp store offset 0
v_mov_b32 v9, v13                                  // temp store offset 1
v_cmp_lt_u32 s[38:39], v6, s[sgprSizesFree+0]      // coord0 < size0
v_cmp_lt_u32 s[40:41], v1, s[sgprSizesFree+1]      // coord1 < size1
s_and_b64 s[42:43], s[38:39], s[40:41]             // in0 && in1
_v_add_co_u32 v12, vcc, v2, v8                     // addrVgpr = D + index*bytes (lo)
_v_addc_co_u32 v13, vcc, v3, v9, vcc               // addrVgpr = D + index*bytes (hi)
v_accvgpr_read_b32 v[vgprValuC+14], acc60 // copy acc to vreg[54]
v_accvgpr_read_b32 v[vgprValuC+15], acc61 // copy acc to vreg[55]
s_nop 1                                            // 2 wait states required before reading vgpr

/* rC *= alpha batchElements=[(6, 3, 0, 0)] */
v_mul_f64 v[vgprValuC+14:vgprValuC+14+1], s[sgprAlpha:sgprAlpha+1], v[vgprValuC+14:vgprValuC+14+1] // *= alpha

/* apply mask, calc new C and issue writes */
s_mov_b64 exec, s[42:43]                           // sgprs -> exec
_global_store_b64 v[12:13], v[14:15], off,  sc0 sc1 // store D
s_mov_b64 exec, -1                                 // full mask -> exec
s_nop 0                                            // 1 wait state required when next inst writes vgprs held by previous dwordx4 store inst
/* optSingleColVgpr=0 optSharedColVgpr=0 optSGPRUsage=None optSrdIncForRow=0 */
s_sleep 7 // optimization: sync and wait
s_barrier

/******************************************/
/* Global Write Alpha Edge Batch #28 (d1,d0,vc1,vc0) = */
/*    (7,0,0,0:vw1)                       */
/******************************************/

/* calc coords, apply mask, and issue loads (if necessary) */
/* (d1,vc1,d0,vc0)=(7,0,0,0) */
_v_add_co_u32 v1, vcc, v1, 4                       // coord1.1: coord1Vgpr += d1*sg1*VW + vc1
GLOBAL_OFFSET_D 12, 0, 1, sgprWorkGroup2, 8
v_mov_b32 v8, v12                                  // temp store offset 0
v_mov_b32 v9, v13                                  // temp store offset 1
v_cmp_lt_u32 s[38:39], v0, s[sgprSizesFree+0]      // coord0 < size0
v_cmp_lt_u32 s[40:41], v1, s[sgprSizesFree+1]      // coord1 < size1
s_and_b64 s[42:43], s[38:39], s[40:41]             // in0 && in1
_v_add_co_u32 v12, vcc, v2, v8                     // addrVgpr = D + index*bytes (lo)
_v_addc_co_u32 v13, vcc, v3, v9, vcc               // addrVgpr = D + index*bytes (hi)
v_accvgpr_read_b32 v[vgprValuC+14], acc38 // copy acc to vreg[56]
v_accvgpr_read_b32 v[vgprValuC+15], acc39 // copy acc to vreg[57]
s_nop 1                                            // 2 wait states required before reading vgpr

/* rC *= alpha batchElements=[(7, 0, 0, 0)] */
v_mul_f64 v[vgprValuC+14:vgprValuC+14+1], s[sgprAlpha:sgprAlpha+1], v[vgprValuC+14:vgprValuC+14+1] // *= alpha

/* apply mask, calc new C and issue writes */
s_mov_b64 exec, s[42:43]                           // sgprs -> exec
_global_store_b64 v[12:13], v[14:15], off,  sc0 sc1 // store D
s_mov_b64 exec, -1                                 // full mask -> exec
s_nop 0                                            // 1 wait state required when next inst writes vgprs held by previous dwordx4 store inst
/* optSingleColVgpr=0 optSharedColVgpr=0 optSGPRUsage=None optSrdIncForRow=0 */
s_sleep 7 // optimization: sync and wait
s_barrier

/******************************************/
/* Global Write Alpha Edge Batch #29 (d1,d0,vc1,vc0) = */
/*    (7,1,0,0:vw1)                       */
/******************************************/

/* calc coords, apply mask, and issue loads (if necessary) */
/* (d1,vc1,d0,vc0)=(7,0,1,0) */
_v_add_co_u32 v6, vcc, v0, 16                      // coord0.1: coord0 += d0*sg0*VW + vc0
GLOBAL_OFFSET_D 12, 6, 1, sgprWorkGroup2, 8
v_mov_b32 v8, v12                                  // temp store offset 0
v_mov_b32 v9, v13                                  // temp store offset 1
v_cmp_lt_u32 s[38:39], v6, s[sgprSizesFree+0]      // coord0 < size0
v_cmp_lt_u32 s[40:41], v1, s[sgprSizesFree+1]      // coord1 < size1
s_and_b64 s[42:43], s[38:39], s[40:41]             // in0 && in1
_v_add_co_u32 v12, vcc, v2, v8                     // addrVgpr = D + index*bytes (lo)
_v_addc_co_u32 v13, vcc, v3, v9, vcc               // addrVgpr = D + index*bytes (hi)
v_accvgpr_read_b32 v[vgprValuC+14], acc46 // copy acc to vreg[58]
v_accvgpr_read_b32 v[vgprValuC+15], acc47 // copy acc to vreg[59]
s_nop 1                                            // 2 wait states required before reading vgpr

/* rC *= alpha batchElements=[(7, 1, 0, 0)] */
v_mul_f64 v[vgprValuC+14:vgprValuC+14+1], s[sgprAlpha:sgprAlpha+1], v[vgprValuC+14:vgprValuC+14+1] // *= alpha

/* apply mask, calc new C and issue writes */
s_mov_b64 exec, s[42:43]                           // sgprs -> exec
_global_store_b64 v[12:13], v[14:15], off,  sc0 sc1 // store D
s_mov_b64 exec, -1                                 // full mask -> exec
s_nop 0                                            // 1 wait state required when next inst writes vgprs held by previous dwordx4 store inst
/* optSingleColVgpr=0 optSharedColVgpr=0 optSGPRUsage=None optSrdIncForRow=0 */
s_sleep 7 // optimization: sync and wait
s_barrier

/******************************************/
/* Global Write Alpha Edge Batch #30 (d1,d0,vc1,vc0) = */
/*    (7,2,0,0:vw1)                       */
/******************************************/

/* calc coords, apply mask, and issue loads (if necessary) */
/* (d1,vc1,d0,vc0)=(7,0,2,0) */
_v_add_co_u32 v6, vcc, v0, 32                      // coord0.1: coord0 += d0*sg0*VW + vc0
GLOBAL_OFFSET_D 12, 6, 1, sgprWorkGroup2, 8
v_mov_b32 v8, v12                                  // temp store offset 0
v_mov_b32 v9, v13                                  // temp store offset 1
v_cmp_lt_u32 s[38:39], v6, s[sgprSizesFree+0]      // coord0 < size0
v_cmp_lt_u32 s[40:41], v1, s[sgprSizesFree+1]      // coord1 < size1
s_and_b64 s[42:43], s[38:39], s[40:41]             // in0 && in1
_v_add_co_u32 v12, vcc, v2, v8                     // addrVgpr = D + index*bytes (lo)
_v_addc_co_u32 v13, vcc, v3, v9, vcc               // addrVgpr = D + index*bytes (hi)
v_accvgpr_read_b32 v[vgprValuC+14], acc54 // copy acc to vreg[60]
v_accvgpr_read_b32 v[vgprValuC+15], acc55 // copy acc to vreg[61]
s_nop 1                                            // 2 wait states required before reading vgpr

/* rC *= alpha batchElements=[(7, 2, 0, 0)] */
v_mul_f64 v[vgprValuC+14:vgprValuC+14+1], s[sgprAlpha:sgprAlpha+1], v[vgprValuC+14:vgprValuC+14+1] // *= alpha

/* apply mask, calc new C and issue writes */
s_mov_b64 exec, s[42:43]                           // sgprs -> exec
_global_store_b64 v[12:13], v[14:15], off,  sc0 sc1 // store D
s_mov_b64 exec, -1                                 // full mask -> exec
s_nop 0                                            // 1 wait state required when next inst writes vgprs held by previous dwordx4 store inst
/* optSingleColVgpr=0 optSharedColVgpr=0 optSGPRUsage=None optSrdIncForRow=0 */
s_sleep 7 // optimization: sync and wait
s_barrier

/******************************************/
/* Global Write Alpha Edge Batch #31 (d1,d0,vc1,vc0) = */
/*    (7,3,0,0:vw1)                       */
/******************************************/

/* calc coords, apply mask, and issue loads (if necessary) */
/* (d1,vc1,d0,vc0)=(7,0,3,0) */
_v_add_co_u32 v6, vcc, v0, 48                      // coord0.1: coord0 += d0*sg0*VW + vc0
GLOBAL_OFFSET_D 12, 6, 1, sgprWorkGroup2, 8
v_mov_b32 v8, v12                                  // temp store offset 0
v_mov_b32 v9, v13                                  // temp store offset 1
v_cmp_lt_u32 s[38:39], v6, s[sgprSizesFree+0]      // coord0 < size0
v_cmp_lt_u32 s[40:41], v1, s[sgprSizesFree+1]      // coord1 < size1
s_and_b64 s[42:43], s[38:39], s[40:41]             // in0 && in1
_v_add_co_u32 v12, vcc, v2, v8                     // addrVgpr = D + index*bytes (lo)
_v_addc_co_u32 v13, vcc, v3, v9, vcc               // addrVgpr = D + index*bytes (hi)
v_accvgpr_read_b32 v[vgprValuC+14], acc62 // copy acc to vreg[62]
v_accvgpr_read_b32 v[vgprValuC+15], acc63 // copy acc to vreg[63]
s_nop 1                                            // 2 wait states required before reading vgpr

/* rC *= alpha batchElements=[(7, 3, 0, 0)] */
v_mul_f64 v[vgprValuC+14:vgprValuC+14+1], s[sgprAlpha:sgprAlpha+1], v[vgprValuC+14:vgprValuC+14+1] // *= alpha

/* apply mask, calc new C and issue writes */
s_mov_b64 exec, s[42:43]                           // sgprs -> exec
_global_store_b64 v[12:13], v[14:15], off,  sc0 sc1 // store D
s_mov_b64 exec, -1                                 // full mask -> exec
s_nop 0                                            // 1 wait state required when next inst writes vgprs held by previous dwordx4 store inst
s_branch label_GW_End_66                           // jump to end
GW_Beta_67:
s_and_b32 s38, 63, s[sgprSizeI]                    // s38 = s[sgprSizeI] % 64
s_add_u32 s39, -0x1, s[sgprNumWorkGroups0]         // 
s_cmp_ge_u32 s[sgprWorkGroup0], s39                // wg0 >= nwg0-1 ?
s_cselect_b32 s38, s38, 0                          // set rMT0
s_cmpk_gt_u32 s38, 0x0                             // rMT0 > 0
s_cbranch_scc1 GW_B1_E1_65                         // jump if edges required
s_and_b32 s38, 127, s[sgprSizeJ]                   // s38 = s[sgprSizeJ] % 128
s_add_u32 s39, -0x1, s[sgprNumWorkGroups1]         // 
s_cmp_ge_u32 s[sgprWorkGroup1], s39                // wg1 >= nwg1-1
s_cselect_b32 s38, s38, 0                          // set rMT1
s_cmpk_gt_u32 s38, 0x0                             // rMT1 > 0
s_cbranch_scc1 GW_B1_E1_65                         // jump if edges required
GW_B1_E0_62:

/* edge=0, allocate 6 sgpr. perBatchTmpS=4 perBatchMaskS=0 perElementMaskS=2 elementsPerBatch=1 */
/* optSingleColVgpr=0 optSharedColVgpr=0 optSGPRUsage=None optSrdIncForRow=0 */
s_sleep 7 // optimization: sync and wait
s_barrier

/******************************************/
/* Global Write Alpha Beta Batch #0 (d1,d0,vc1,vc0) = */
/*    (0,0,0,0:vw1)                       */
/******************************************/

/* calc coords, apply mask, and issue loads (if necessary) */
/* (d1,vc1,d0,vc0)=(0,0,0,0) */
GLOBAL_OFFSET_C 12, 0, 1, sgprWorkGroup2, 8
v_mov_b32 v8, v12                                  // temp store offset 0
v_mov_b32 v9, v13                                  // temp store offset 1
_v_add_co_u32 v12, vcc, v4, v8                     // addrVgpr = C + index*bytes (lo)
_v_addc_co_u32 v13, vcc, v5, v9, vcc               // addrVgpr = C + index*bytes (hi)
_global_load_b64 v[14:15], v[12:13], off, offset:0,  sc0 sc1 // load C for beta calc
GLOBAL_OFFSET_D 12, 0, 1, sgprWorkGroup2, 8
v_mov_b32 v8, v12                                  // temp store offset 0
v_mov_b32 v9, v13                                  // temp store offset 1
_v_add_co_u32 v12, vcc, v2, v8                     // addrVgpr = D + index*bytes (lo)
_v_addc_co_u32 v13, vcc, v3, v9, vcc               // addrVgpr = D + index*bytes (hi)
s_sleep 7 // optimization: sync and wait
s_barrier
v_accvgpr_read_b32 v[vgprValuC+16], acc0 // copy acc to vreg[0]
v_accvgpr_read_b32 v[vgprValuC+17], acc1 // copy acc to vreg[1]
s_nop 1                                            // 2 wait states required before reading vgpr

/* rC *= alpha batchElements=[(0, 0, 0, 0)] */
v_mul_f64 v[vgprValuC+16:vgprValuC+16+1], s[sgprAlpha:sgprAlpha+1], v[vgprValuC+16:vgprValuC+16+1] // *= alpha
s_waitcnt vmcnt(0)                                 // wait C

/* apply mask, calc new C and issue writes */
v_fma_f64 v[vgprValuC+16:vgprValuC+16+1], v[14:15], s[sgprBeta:sgprBeta+1], v[vgprValuC+16:vgprValuC+16+1] // finalSum = sum*alpha + C*beta
_global_store_b64 v[12:13], v[16:17], off,  sc0 sc1 // store D
s_nop 0                                            // 1 wait state required when next inst writes vgprs held by previous dwordx4 store inst
/* optSingleColVgpr=0 optSharedColVgpr=0 optSGPRUsage=None optSrdIncForRow=0 */
s_sleep 7 // optimization: sync and wait
s_barrier

/******************************************/
/* Global Write Alpha Beta Batch #1 (d1,d0,vc1,vc0) = */
/*    (0,1,0,0:vw1)                       */
/******************************************/

/* calc coords, apply mask, and issue loads (if necessary) */
/* (d1,vc1,d0,vc0)=(0,0,1,0) */
_v_add_co_u32 v6, vcc, v0, 16                      // coord0.1: coord0 += d0*sg0*VW + vc0
GLOBAL_OFFSET_C 12, 6, 1, sgprWorkGroup2, 8
v_mov_b32 v8, v12                                  // temp store offset 0
v_mov_b32 v9, v13                                  // temp store offset 1
_v_add_co_u32 v12, vcc, v4, v8                     // addrVgpr = C + index*bytes (lo)
_v_addc_co_u32 v13, vcc, v5, v9, vcc               // addrVgpr = C + index*bytes (hi)
_global_load_b64 v[14:15], v[12:13], off, offset:0,  sc0 sc1 // load C for beta calc
GLOBAL_OFFSET_D 12, 6, 1, sgprWorkGroup2, 8
v_mov_b32 v8, v12                                  // temp store offset 0
v_mov_b32 v9, v13                                  // temp store offset 1
_v_add_co_u32 v12, vcc, v2, v8                     // addrVgpr = D + index*bytes (lo)
_v_addc_co_u32 v13, vcc, v3, v9, vcc               // addrVgpr = D + index*bytes (hi)
s_sleep 7 // optimization: sync and wait
s_barrier
v_accvgpr_read_b32 v[vgprValuC+16], acc8 // copy acc to vreg[2]
v_accvgpr_read_b32 v[vgprValuC+17], acc9 // copy acc to vreg[3]
s_nop 1                                            // 2 wait states required before reading vgpr

/* rC *= alpha batchElements=[(0, 1, 0, 0)] */
v_mul_f64 v[vgprValuC+16:vgprValuC+16+1], s[sgprAlpha:sgprAlpha+1], v[vgprValuC+16:vgprValuC+16+1] // *= alpha
s_waitcnt vmcnt(0)                                 // wait C

/* apply mask, calc new C and issue writes */
v_fma_f64 v[vgprValuC+16:vgprValuC+16+1], v[14:15], s[sgprBeta:sgprBeta+1], v[vgprValuC+16:vgprValuC+16+1] // finalSum = sum*alpha + C*beta
_global_store_b64 v[12:13], v[16:17], off,  sc0 sc1 // store D
s_nop 0                                            // 1 wait state required when next inst writes vgprs held by previous dwordx4 store inst
/* optSingleColVgpr=0 optSharedColVgpr=0 optSGPRUsage=None optSrdIncForRow=0 */
s_sleep 7 // optimization: sync and wait
s_barrier

/******************************************/
/* Global Write Alpha Beta Batch #2 (d1,d0,vc1,vc0) = */
/*    (0,2,0,0:vw1)                       */
/******************************************/

/* calc coords, apply mask, and issue loads (if necessary) */
/* (d1,vc1,d0,vc0)=(0,0,2,0) */
_v_add_co_u32 v6, vcc, v0, 32                      // coord0.1: coord0 += d0*sg0*VW + vc0
GLOBAL_OFFSET_C 12, 6, 1, sgprWorkGroup2, 8
v_mov_b32 v8, v12                                  // temp store offset 0
v_mov_b32 v9, v13                                  // temp store offset 1
_v_add_co_u32 v12, vcc, v4, v8                     // addrVgpr = C + index*bytes (lo)
_v_addc_co_u32 v13, vcc, v5, v9, vcc               // addrVgpr = C + index*bytes (hi)
_global_load_b64 v[14:15], v[12:13], off, offset:0,  sc0 sc1 // load C for beta calc
GLOBAL_OFFSET_D 12, 6, 1, sgprWorkGroup2, 8
v_mov_b32 v8, v12                                  // temp store offset 0
v_mov_b32 v9, v13                                  // temp store offset 1
_v_add_co_u32 v12, vcc, v2, v8                     // addrVgpr = D + index*bytes (lo)
_v_addc_co_u32 v13, vcc, v3, v9, vcc               // addrVgpr = D + index*bytes (hi)
s_sleep 7 // optimization: sync and wait
s_barrier
v_accvgpr_read_b32 v[vgprValuC+16], acc16 // copy acc to vreg[4]
v_accvgpr_read_b32 v[vgprValuC+17], acc17 // copy acc to vreg[5]
s_nop 1                                            // 2 wait states required before reading vgpr

/* rC *= alpha batchElements=[(0, 2, 0, 0)] */
v_mul_f64 v[vgprValuC+16:vgprValuC+16+1], s[sgprAlpha:sgprAlpha+1], v[vgprValuC+16:vgprValuC+16+1] // *= alpha
s_waitcnt vmcnt(0)                                 // wait C

/* apply mask, calc new C and issue writes */
v_fma_f64 v[vgprValuC+16:vgprValuC+16+1], v[14:15], s[sgprBeta:sgprBeta+1], v[vgprValuC+16:vgprValuC+16+1] // finalSum = sum*alpha + C*beta
_global_store_b64 v[12:13], v[16:17], off,  sc0 sc1 // store D
s_nop 0                                            // 1 wait state required when next inst writes vgprs held by previous dwordx4 store inst
/* optSingleColVgpr=0 optSharedColVgpr=0 optSGPRUsage=None optSrdIncForRow=0 */
s_sleep 7 // optimization: sync and wait
s_barrier

/******************************************/
/* Global Write Alpha Beta Batch #3 (d1,d0,vc1,vc0) = */
/*    (0,3,0,0:vw1)                       */
/******************************************/

/* calc coords, apply mask, and issue loads (if necessary) */
/* (d1,vc1,d0,vc0)=(0,0,3,0) */
_v_add_co_u32 v6, vcc, v0, 48                      // coord0.1: coord0 += d0*sg0*VW + vc0
GLOBAL_OFFSET_C 12, 6, 1, sgprWorkGroup2, 8
v_mov_b32 v8, v12                                  // temp store offset 0
v_mov_b32 v9, v13                                  // temp store offset 1
_v_add_co_u32 v12, vcc, v4, v8                     // addrVgpr = C + index*bytes (lo)
_v_addc_co_u32 v13, vcc, v5, v9, vcc               // addrVgpr = C + index*bytes (hi)
_global_load_b64 v[14:15], v[12:13], off, offset:0,  sc0 sc1 // load C for beta calc
GLOBAL_OFFSET_D 12, 6, 1, sgprWorkGroup2, 8
v_mov_b32 v8, v12                                  // temp store offset 0
v_mov_b32 v9, v13                                  // temp store offset 1
_v_add_co_u32 v12, vcc, v2, v8                     // addrVgpr = D + index*bytes (lo)
_v_addc_co_u32 v13, vcc, v3, v9, vcc               // addrVgpr = D + index*bytes (hi)
s_sleep 7 // optimization: sync and wait
s_barrier
v_accvgpr_read_b32 v[vgprValuC+16], acc24 // copy acc to vreg[6]
v_accvgpr_read_b32 v[vgprValuC+17], acc25 // copy acc to vreg[7]
s_nop 1                                            // 2 wait states required before reading vgpr

/* rC *= alpha batchElements=[(0, 3, 0, 0)] */
v_mul_f64 v[vgprValuC+16:vgprValuC+16+1], s[sgprAlpha:sgprAlpha+1], v[vgprValuC+16:vgprValuC+16+1] // *= alpha
s_waitcnt vmcnt(0)                                 // wait C

/* apply mask, calc new C and issue writes */
v_fma_f64 v[vgprValuC+16:vgprValuC+16+1], v[14:15], s[sgprBeta:sgprBeta+1], v[vgprValuC+16:vgprValuC+16+1] // finalSum = sum*alpha + C*beta
_global_store_b64 v[12:13], v[16:17], off,  sc0 sc1 // store D
s_nop 0                                            // 1 wait state required when next inst writes vgprs held by previous dwordx4 store inst
/* optSingleColVgpr=0 optSharedColVgpr=0 optSGPRUsage=None optSrdIncForRow=0 */
s_sleep 7 // optimization: sync and wait
s_barrier

/******************************************/
/* Global Write Alpha Beta Batch #4 (d1,d0,vc1,vc0) = */
/*    (1,0,0,0:vw1)                       */
/******************************************/

/* calc coords, apply mask, and issue loads (if necessary) */
/* (d1,vc1,d0,vc0)=(1,0,0,0) */
_v_add_co_u32 v1, vcc, v1, 4                       // coord1.1: coord1Vgpr += d1*sg1*VW + vc1
GLOBAL_OFFSET_C 12, 0, 1, sgprWorkGroup2, 8
v_mov_b32 v8, v12                                  // temp store offset 0
v_mov_b32 v9, v13                                  // temp store offset 1
_v_add_co_u32 v12, vcc, v4, v8                     // addrVgpr = C + index*bytes (lo)
_v_addc_co_u32 v13, vcc, v5, v9, vcc               // addrVgpr = C + index*bytes (hi)
_global_load_b64 v[14:15], v[12:13], off, offset:0,  sc0 sc1 // load C for beta calc
GLOBAL_OFFSET_D 12, 0, 1, sgprWorkGroup2, 8
v_mov_b32 v8, v12                                  // temp store offset 0
v_mov_b32 v9, v13                                  // temp store offset 1
_v_add_co_u32 v12, vcc, v2, v8                     // addrVgpr = D + index*bytes (lo)
_v_addc_co_u32 v13, vcc, v3, v9, vcc               // addrVgpr = D + index*bytes (hi)
s_sleep 7 // optimization: sync and wait
s_barrier
v_accvgpr_read_b32 v[vgprValuC+16], acc2 // copy acc to vreg[8]
v_accvgpr_read_b32 v[vgprValuC+17], acc3 // copy acc to vreg[9]
s_nop 1                                            // 2 wait states required before reading vgpr

/* rC *= alpha batchElements=[(1, 0, 0, 0)] */
v_mul_f64 v[vgprValuC+16:vgprValuC+16+1], s[sgprAlpha:sgprAlpha+1], v[vgprValuC+16:vgprValuC+16+1] // *= alpha
s_waitcnt vmcnt(0)                                 // wait C

/* apply mask, calc new C and issue writes */
v_fma_f64 v[vgprValuC+16:vgprValuC+16+1], v[14:15], s[sgprBeta:sgprBeta+1], v[vgprValuC+16:vgprValuC+16+1] // finalSum = sum*alpha + C*beta
_global_store_b64 v[12:13], v[16:17], off,  sc0 sc1 // store D
s_nop 0                                            // 1 wait state required when next inst writes vgprs held by previous dwordx4 store inst
/* optSingleColVgpr=0 optSharedColVgpr=0 optSGPRUsage=None optSrdIncForRow=0 */
s_sleep 7 // optimization: sync and wait
s_barrier

/******************************************/
/* Global Write Alpha Beta Batch #5 (d1,d0,vc1,vc0) = */
/*    (1,1,0,0:vw1)                       */
/******************************************/

/* calc coords, apply mask, and issue loads (if necessary) */
/* (d1,vc1,d0,vc0)=(1,0,1,0) */
_v_add_co_u32 v6, vcc, v0, 16                      // coord0.1: coord0 += d0*sg0*VW + vc0
GLOBAL_OFFSET_C 12, 6, 1, sgprWorkGroup2, 8
v_mov_b32 v8, v12                                  // temp store offset 0
v_mov_b32 v9, v13                                  // temp store offset 1
_v_add_co_u32 v12, vcc, v4, v8                     // addrVgpr = C + index*bytes (lo)
_v_addc_co_u32 v13, vcc, v5, v9, vcc               // addrVgpr = C + index*bytes (hi)
_global_load_b64 v[14:15], v[12:13], off, offset:0,  sc0 sc1 // load C for beta calc
GLOBAL_OFFSET_D 12, 6, 1, sgprWorkGroup2, 8
v_mov_b32 v8, v12                                  // temp store offset 0
v_mov_b32 v9, v13                                  // temp store offset 1
_v_add_co_u32 v12, vcc, v2, v8                     // addrVgpr = D + index*bytes (lo)
_v_addc_co_u32 v13, vcc, v3, v9, vcc               // addrVgpr = D + index*bytes (hi)
s_sleep 7 // optimization: sync and wait
s_barrier
v_accvgpr_read_b32 v[vgprValuC+16], acc10 // copy acc to vreg[10]
v_accvgpr_read_b32 v[vgprValuC+17], acc11 // copy acc to vreg[11]
s_nop 1                                            // 2 wait states required before reading vgpr

/* rC *= alpha batchElements=[(1, 1, 0, 0)] */
v_mul_f64 v[vgprValuC+16:vgprValuC+16+1], s[sgprAlpha:sgprAlpha+1], v[vgprValuC+16:vgprValuC+16+1] // *= alpha
s_waitcnt vmcnt(0)                                 // wait C

/* apply mask, calc new C and issue writes */
v_fma_f64 v[vgprValuC+16:vgprValuC+16+1], v[14:15], s[sgprBeta:sgprBeta+1], v[vgprValuC+16:vgprValuC+16+1] // finalSum = sum*alpha + C*beta
_global_store_b64 v[12:13], v[16:17], off,  sc0 sc1 // store D
s_nop 0                                            // 1 wait state required when next inst writes vgprs held by previous dwordx4 store inst
/* optSingleColVgpr=0 optSharedColVgpr=0 optSGPRUsage=None optSrdIncForRow=0 */
s_sleep 7 // optimization: sync and wait
s_barrier

/******************************************/
/* Global Write Alpha Beta Batch #6 (d1,d0,vc1,vc0) = */
/*    (1,2,0,0:vw1)                       */
/******************************************/

/* calc coords, apply mask, and issue loads (if necessary) */
/* (d1,vc1,d0,vc0)=(1,0,2,0) */
_v_add_co_u32 v6, vcc, v0, 32                      // coord0.1: coord0 += d0*sg0*VW + vc0
GLOBAL_OFFSET_C 12, 6, 1, sgprWorkGroup2, 8
v_mov_b32 v8, v12                                  // temp store offset 0
v_mov_b32 v9, v13                                  // temp store offset 1
_v_add_co_u32 v12, vcc, v4, v8                     // addrVgpr = C + index*bytes (lo)
_v_addc_co_u32 v13, vcc, v5, v9, vcc               // addrVgpr = C + index*bytes (hi)
_global_load_b64 v[14:15], v[12:13], off, offset:0,  sc0 sc1 // load C for beta calc
GLOBAL_OFFSET_D 12, 6, 1, sgprWorkGroup2, 8
v_mov_b32 v8, v12                                  // temp store offset 0
v_mov_b32 v9, v13                                  // temp store offset 1
_v_add_co_u32 v12, vcc, v2, v8                     // addrVgpr = D + index*bytes (lo)
_v_addc_co_u32 v13, vcc, v3, v9, vcc               // addrVgpr = D + index*bytes (hi)
s_sleep 7 // optimization: sync and wait
s_barrier
v_accvgpr_read_b32 v[vgprValuC+16], acc18 // copy acc to vreg[12]
v_accvgpr_read_b32 v[vgprValuC+17], acc19 // copy acc to vreg[13]
s_nop 1                                            // 2 wait states required before reading vgpr

/* rC *= alpha batchElements=[(1, 2, 0, 0)] */
v_mul_f64 v[vgprValuC+16:vgprValuC+16+1], s[sgprAlpha:sgprAlpha+1], v[vgprValuC+16:vgprValuC+16+1] // *= alpha
s_waitcnt vmcnt(0)                                 // wait C

/* apply mask, calc new C and issue writes */
v_fma_f64 v[vgprValuC+16:vgprValuC+16+1], v[14:15], s[sgprBeta:sgprBeta+1], v[vgprValuC+16:vgprValuC+16+1] // finalSum = sum*alpha + C*beta
_global_store_b64 v[12:13], v[16:17], off,  sc0 sc1 // store D
s_nop 0                                            // 1 wait state required when next inst writes vgprs held by previous dwordx4 store inst
/* optSingleColVgpr=0 optSharedColVgpr=0 optSGPRUsage=None optSrdIncForRow=0 */
s_sleep 7 // optimization: sync and wait
s_barrier

/******************************************/
/* Global Write Alpha Beta Batch #7 (d1,d0,vc1,vc0) = */
/*    (1,3,0,0:vw1)                       */
/******************************************/

/* calc coords, apply mask, and issue loads (if necessary) */
/* (d1,vc1,d0,vc0)=(1,0,3,0) */
_v_add_co_u32 v6, vcc, v0, 48                      // coord0.1: coord0 += d0*sg0*VW + vc0
GLOBAL_OFFSET_C 12, 6, 1, sgprWorkGroup2, 8
v_mov_b32 v8, v12                                  // temp store offset 0
v_mov_b32 v9, v13                                  // temp store offset 1
_v_add_co_u32 v12, vcc, v4, v8                     // addrVgpr = C + index*bytes (lo)
_v_addc_co_u32 v13, vcc, v5, v9, vcc               // addrVgpr = C + index*bytes (hi)
_global_load_b64 v[14:15], v[12:13], off, offset:0,  sc0 sc1 // load C for beta calc
GLOBAL_OFFSET_D 12, 6, 1, sgprWorkGroup2, 8
v_mov_b32 v8, v12                                  // temp store offset 0
v_mov_b32 v9, v13                                  // temp store offset 1
_v_add_co_u32 v12, vcc, v2, v8                     // addrVgpr = D + index*bytes (lo)
_v_addc_co_u32 v13, vcc, v3, v9, vcc               // addrVgpr = D + index*bytes (hi)
s_sleep 7 // optimization: sync and wait
s_barrier
v_accvgpr_read_b32 v[vgprValuC+16], acc26 // copy acc to vreg[14]
v_accvgpr_read_b32 v[vgprValuC+17], acc27 // copy acc to vreg[15]
s_nop 1                                            // 2 wait states required before reading vgpr

/* rC *= alpha batchElements=[(1, 3, 0, 0)] */
v_mul_f64 v[vgprValuC+16:vgprValuC+16+1], s[sgprAlpha:sgprAlpha+1], v[vgprValuC+16:vgprValuC+16+1] // *= alpha
s_waitcnt vmcnt(0)                                 // wait C

/* apply mask, calc new C and issue writes */
v_fma_f64 v[vgprValuC+16:vgprValuC+16+1], v[14:15], s[sgprBeta:sgprBeta+1], v[vgprValuC+16:vgprValuC+16+1] // finalSum = sum*alpha + C*beta
_global_store_b64 v[12:13], v[16:17], off,  sc0 sc1 // store D
s_nop 0                                            // 1 wait state required when next inst writes vgprs held by previous dwordx4 store inst
/* optSingleColVgpr=0 optSharedColVgpr=0 optSGPRUsage=None optSrdIncForRow=0 */
s_sleep 7 // optimization: sync and wait
s_barrier

/******************************************/
/* Global Write Alpha Beta Batch #8 (d1,d0,vc1,vc0) = */
/*    (2,0,0,0:vw1)                       */
/******************************************/

/* calc coords, apply mask, and issue loads (if necessary) */
/* (d1,vc1,d0,vc0)=(2,0,0,0) */
_v_add_co_u32 v1, vcc, v1, 4                       // coord1.1: coord1Vgpr += d1*sg1*VW + vc1
GLOBAL_OFFSET_C 12, 0, 1, sgprWorkGroup2, 8
v_mov_b32 v8, v12                                  // temp store offset 0
v_mov_b32 v9, v13                                  // temp store offset 1
_v_add_co_u32 v12, vcc, v4, v8                     // addrVgpr = C + index*bytes (lo)
_v_addc_co_u32 v13, vcc, v5, v9, vcc               // addrVgpr = C + index*bytes (hi)
_global_load_b64 v[14:15], v[12:13], off, offset:0,  sc0 sc1 // load C for beta calc
GLOBAL_OFFSET_D 12, 0, 1, sgprWorkGroup2, 8
v_mov_b32 v8, v12                                  // temp store offset 0
v_mov_b32 v9, v13                                  // temp store offset 1
_v_add_co_u32 v12, vcc, v2, v8                     // addrVgpr = D + index*bytes (lo)
_v_addc_co_u32 v13, vcc, v3, v9, vcc               // addrVgpr = D + index*bytes (hi)
s_sleep 7 // optimization: sync and wait
s_barrier
v_accvgpr_read_b32 v[vgprValuC+16], acc4 // copy acc to vreg[16]
v_accvgpr_read_b32 v[vgprValuC+17], acc5 // copy acc to vreg[17]
s_nop 1                                            // 2 wait states required before reading vgpr

/* rC *= alpha batchElements=[(2, 0, 0, 0)] */
v_mul_f64 v[vgprValuC+16:vgprValuC+16+1], s[sgprAlpha:sgprAlpha+1], v[vgprValuC+16:vgprValuC+16+1] // *= alpha
s_waitcnt vmcnt(0)                                 // wait C

/* apply mask, calc new C and issue writes */
v_fma_f64 v[vgprValuC+16:vgprValuC+16+1], v[14:15], s[sgprBeta:sgprBeta+1], v[vgprValuC+16:vgprValuC+16+1] // finalSum = sum*alpha + C*beta
_global_store_b64 v[12:13], v[16:17], off,  sc0 sc1 // store D
s_nop 0                                            // 1 wait state required when next inst writes vgprs held by previous dwordx4 store inst
/* optSingleColVgpr=0 optSharedColVgpr=0 optSGPRUsage=None optSrdIncForRow=0 */
s_sleep 7 // optimization: sync and wait
s_barrier

/******************************************/
/* Global Write Alpha Beta Batch #9 (d1,d0,vc1,vc0) = */
/*    (2,1,0,0:vw1)                       */
/******************************************/

/* calc coords, apply mask, and issue loads (if necessary) */
/* (d1,vc1,d0,vc0)=(2,0,1,0) */
_v_add_co_u32 v6, vcc, v0, 16                      // coord0.1: coord0 += d0*sg0*VW + vc0
GLOBAL_OFFSET_C 12, 6, 1, sgprWorkGroup2, 8
v_mov_b32 v8, v12                                  // temp store offset 0
v_mov_b32 v9, v13                                  // temp store offset 1
_v_add_co_u32 v12, vcc, v4, v8                     // addrVgpr = C + index*bytes (lo)
_v_addc_co_u32 v13, vcc, v5, v9, vcc               // addrVgpr = C + index*bytes (hi)
_global_load_b64 v[14:15], v[12:13], off, offset:0,  sc0 sc1 // load C for beta calc
GLOBAL_OFFSET_D 12, 6, 1, sgprWorkGroup2, 8
v_mov_b32 v8, v12                                  // temp store offset 0
v_mov_b32 v9, v13                                  // temp store offset 1
_v_add_co_u32 v12, vcc, v2, v8                     // addrVgpr = D + index*bytes (lo)
_v_addc_co_u32 v13, vcc, v3, v9, vcc               // addrVgpr = D + index*bytes (hi)
s_sleep 7 // optimization: sync and wait
s_barrier
v_accvgpr_read_b32 v[vgprValuC+16], acc12 // copy acc to vreg[18]
v_accvgpr_read_b32 v[vgprValuC+17], acc13 // copy acc to vreg[19]
s_nop 1                                            // 2 wait states required before reading vgpr

/* rC *= alpha batchElements=[(2, 1, 0, 0)] */
v_mul_f64 v[vgprValuC+16:vgprValuC+16+1], s[sgprAlpha:sgprAlpha+1], v[vgprValuC+16:vgprValuC+16+1] // *= alpha
s_waitcnt vmcnt(0)                                 // wait C

/* apply mask, calc new C and issue writes */
v_fma_f64 v[vgprValuC+16:vgprValuC+16+1], v[14:15], s[sgprBeta:sgprBeta+1], v[vgprValuC+16:vgprValuC+16+1] // finalSum = sum*alpha + C*beta
_global_store_b64 v[12:13], v[16:17], off,  sc0 sc1 // store D
s_nop 0                                            // 1 wait state required when next inst writes vgprs held by previous dwordx4 store inst
/* optSingleColVgpr=0 optSharedColVgpr=0 optSGPRUsage=None optSrdIncForRow=0 */
s_sleep 7 // optimization: sync and wait
s_barrier

/******************************************/
/* Global Write Alpha Beta Batch #10 (d1,d0,vc1,vc0) = */
/*    (2,2,0,0:vw1)                       */
/******************************************/

/* calc coords, apply mask, and issue loads (if necessary) */
/* (d1,vc1,d0,vc0)=(2,0,2,0) */
_v_add_co_u32 v6, vcc, v0, 32                      // coord0.1: coord0 += d0*sg0*VW + vc0
GLOBAL_OFFSET_C 12, 6, 1, sgprWorkGroup2, 8
v_mov_b32 v8, v12                                  // temp store offset 0
v_mov_b32 v9, v13                                  // temp store offset 1
_v_add_co_u32 v12, vcc, v4, v8                     // addrVgpr = C + index*bytes (lo)
_v_addc_co_u32 v13, vcc, v5, v9, vcc               // addrVgpr = C + index*bytes (hi)
_global_load_b64 v[14:15], v[12:13], off, offset:0,  sc0 sc1 // load C for beta calc
GLOBAL_OFFSET_D 12, 6, 1, sgprWorkGroup2, 8
v_mov_b32 v8, v12                                  // temp store offset 0
v_mov_b32 v9, v13                                  // temp store offset 1
_v_add_co_u32 v12, vcc, v2, v8                     // addrVgpr = D + index*bytes (lo)
_v_addc_co_u32 v13, vcc, v3, v9, vcc               // addrVgpr = D + index*bytes (hi)
s_sleep 7 // optimization: sync and wait
s_barrier
v_accvgpr_read_b32 v[vgprValuC+16], acc20 // copy acc to vreg[20]
v_accvgpr_read_b32 v[vgprValuC+17], acc21 // copy acc to vreg[21]
s_nop 1                                            // 2 wait states required before reading vgpr

/* rC *= alpha batchElements=[(2, 2, 0, 0)] */
v_mul_f64 v[vgprValuC+16:vgprValuC+16+1], s[sgprAlpha:sgprAlpha+1], v[vgprValuC+16:vgprValuC+16+1] // *= alpha
s_waitcnt vmcnt(0)                                 // wait C

/* apply mask, calc new C and issue writes */
v_fma_f64 v[vgprValuC+16:vgprValuC+16+1], v[14:15], s[sgprBeta:sgprBeta+1], v[vgprValuC+16:vgprValuC+16+1] // finalSum = sum*alpha + C*beta
_global_store_b64 v[12:13], v[16:17], off,  sc0 sc1 // store D
s_nop 0                                            // 1 wait state required when next inst writes vgprs held by previous dwordx4 store inst
/* optSingleColVgpr=0 optSharedColVgpr=0 optSGPRUsage=None optSrdIncForRow=0 */
s_sleep 7 // optimization: sync and wait
s_barrier

/******************************************/
/* Global Write Alpha Beta Batch #11 (d1,d0,vc1,vc0) = */
/*    (2,3,0,0:vw1)                       */
/******************************************/

/* calc coords, apply mask, and issue loads (if necessary) */
/* (d1,vc1,d0,vc0)=(2,0,3,0) */
_v_add_co_u32 v6, vcc, v0, 48                      // coord0.1: coord0 += d0*sg0*VW + vc0
GLOBAL_OFFSET_C 12, 6, 1, sgprWorkGroup2, 8
v_mov_b32 v8, v12                                  // temp store offset 0
v_mov_b32 v9, v13                                  // temp store offset 1
_v_add_co_u32 v12, vcc, v4, v8                     // addrVgpr = C + index*bytes (lo)
_v_addc_co_u32 v13, vcc, v5, v9, vcc               // addrVgpr = C + index*bytes (hi)
_global_load_b64 v[14:15], v[12:13], off, offset:0,  sc0 sc1 // load C for beta calc
GLOBAL_OFFSET_D 12, 6, 1, sgprWorkGroup2, 8
v_mov_b32 v8, v12                                  // temp store offset 0
v_mov_b32 v9, v13                                  // temp store offset 1
_v_add_co_u32 v12, vcc, v2, v8                     // addrVgpr = D + index*bytes (lo)
_v_addc_co_u32 v13, vcc, v3, v9, vcc               // addrVgpr = D + index*bytes (hi)
s_sleep 7 // optimization: sync and wait
s_barrier
v_accvgpr_read_b32 v[vgprValuC+16], acc28 // copy acc to vreg[22]
v_accvgpr_read_b32 v[vgprValuC+17], acc29 // copy acc to vreg[23]
s_nop 1                                            // 2 wait states required before reading vgpr

/* rC *= alpha batchElements=[(2, 3, 0, 0)] */
v_mul_f64 v[vgprValuC+16:vgprValuC+16+1], s[sgprAlpha:sgprAlpha+1], v[vgprValuC+16:vgprValuC+16+1] // *= alpha
s_waitcnt vmcnt(0)                                 // wait C

/* apply mask, calc new C and issue writes */
v_fma_f64 v[vgprValuC+16:vgprValuC+16+1], v[14:15], s[sgprBeta:sgprBeta+1], v[vgprValuC+16:vgprValuC+16+1] // finalSum = sum*alpha + C*beta
_global_store_b64 v[12:13], v[16:17], off,  sc0 sc1 // store D
s_nop 0                                            // 1 wait state required when next inst writes vgprs held by previous dwordx4 store inst
/* optSingleColVgpr=0 optSharedColVgpr=0 optSGPRUsage=None optSrdIncForRow=0 */
s_sleep 7 // optimization: sync and wait
s_barrier

/******************************************/
/* Global Write Alpha Beta Batch #12 (d1,d0,vc1,vc0) = */
/*    (3,0,0,0:vw1)                       */
/******************************************/

/* calc coords, apply mask, and issue loads (if necessary) */
/* (d1,vc1,d0,vc0)=(3,0,0,0) */
_v_add_co_u32 v1, vcc, v1, 4                       // coord1.1: coord1Vgpr += d1*sg1*VW + vc1
GLOBAL_OFFSET_C 12, 0, 1, sgprWorkGroup2, 8
v_mov_b32 v8, v12                                  // temp store offset 0
v_mov_b32 v9, v13                                  // temp store offset 1
_v_add_co_u32 v12, vcc, v4, v8                     // addrVgpr = C + index*bytes (lo)
_v_addc_co_u32 v13, vcc, v5, v9, vcc               // addrVgpr = C + index*bytes (hi)
_global_load_b64 v[14:15], v[12:13], off, offset:0,  sc0 sc1 // load C for beta calc
GLOBAL_OFFSET_D 12, 0, 1, sgprWorkGroup2, 8
v_mov_b32 v8, v12                                  // temp store offset 0
v_mov_b32 v9, v13                                  // temp store offset 1
_v_add_co_u32 v12, vcc, v2, v8                     // addrVgpr = D + index*bytes (lo)
_v_addc_co_u32 v13, vcc, v3, v9, vcc               // addrVgpr = D + index*bytes (hi)
s_sleep 7 // optimization: sync and wait
s_barrier
v_accvgpr_read_b32 v[vgprValuC+16], acc6 // copy acc to vreg[24]
v_accvgpr_read_b32 v[vgprValuC+17], acc7 // copy acc to vreg[25]
s_nop 1                                            // 2 wait states required before reading vgpr

/* rC *= alpha batchElements=[(3, 0, 0, 0)] */
v_mul_f64 v[vgprValuC+16:vgprValuC+16+1], s[sgprAlpha:sgprAlpha+1], v[vgprValuC+16:vgprValuC+16+1] // *= alpha
s_waitcnt vmcnt(0)                                 // wait C

/* apply mask, calc new C and issue writes */
v_fma_f64 v[vgprValuC+16:vgprValuC+16+1], v[14:15], s[sgprBeta:sgprBeta+1], v[vgprValuC+16:vgprValuC+16+1] // finalSum = sum*alpha + C*beta
_global_store_b64 v[12:13], v[16:17], off,  sc0 sc1 // store D
s_nop 0                                            // 1 wait state required when next inst writes vgprs held by previous dwordx4 store inst
/* optSingleColVgpr=0 optSharedColVgpr=0 optSGPRUsage=None optSrdIncForRow=0 */
s_sleep 7 // optimization: sync and wait
s_barrier

/******************************************/
/* Global Write Alpha Beta Batch #13 (d1,d0,vc1,vc0) = */
/*    (3,1,0,0:vw1)                       */
/******************************************/

/* calc coords, apply mask, and issue loads (if necessary) */
/* (d1,vc1,d0,vc0)=(3,0,1,0) */
_v_add_co_u32 v6, vcc, v0, 16                      // coord0.1: coord0 += d0*sg0*VW + vc0
GLOBAL_OFFSET_C 12, 6, 1, sgprWorkGroup2, 8
v_mov_b32 v8, v12                                  // temp store offset 0
v_mov_b32 v9, v13                                  // temp store offset 1
_v_add_co_u32 v12, vcc, v4, v8                     // addrVgpr = C + index*bytes (lo)
_v_addc_co_u32 v13, vcc, v5, v9, vcc               // addrVgpr = C + index*bytes (hi)
_global_load_b64 v[14:15], v[12:13], off, offset:0,  sc0 sc1 // load C for beta calc
GLOBAL_OFFSET_D 12, 6, 1, sgprWorkGroup2, 8
v_mov_b32 v8, v12                                  // temp store offset 0
v_mov_b32 v9, v13                                  // temp store offset 1
_v_add_co_u32 v12, vcc, v2, v8                     // addrVgpr = D + index*bytes (lo)
_v_addc_co_u32 v13, vcc, v3, v9, vcc               // addrVgpr = D + index*bytes (hi)
s_sleep 7 // optimization: sync and wait
s_barrier
v_accvgpr_read_b32 v[vgprValuC+16], acc14 // copy acc to vreg[26]
v_accvgpr_read_b32 v[vgprValuC+17], acc15 // copy acc to vreg[27]
s_nop 1                                            // 2 wait states required before reading vgpr

/* rC *= alpha batchElements=[(3, 1, 0, 0)] */
v_mul_f64 v[vgprValuC+16:vgprValuC+16+1], s[sgprAlpha:sgprAlpha+1], v[vgprValuC+16:vgprValuC+16+1] // *= alpha
s_waitcnt vmcnt(0)                                 // wait C

/* apply mask, calc new C and issue writes */
v_fma_f64 v[vgprValuC+16:vgprValuC+16+1], v[14:15], s[sgprBeta:sgprBeta+1], v[vgprValuC+16:vgprValuC+16+1] // finalSum = sum*alpha + C*beta
_global_store_b64 v[12:13], v[16:17], off,  sc0 sc1 // store D
s_nop 0                                            // 1 wait state required when next inst writes vgprs held by previous dwordx4 store inst
/* optSingleColVgpr=0 optSharedColVgpr=0 optSGPRUsage=None optSrdIncForRow=0 */
s_sleep 7 // optimization: sync and wait
s_barrier

/******************************************/
/* Global Write Alpha Beta Batch #14 (d1,d0,vc1,vc0) = */
/*    (3,2,0,0:vw1)                       */
/******************************************/

/* calc coords, apply mask, and issue loads (if necessary) */
/* (d1,vc1,d0,vc0)=(3,0,2,0) */
_v_add_co_u32 v6, vcc, v0, 32                      // coord0.1: coord0 += d0*sg0*VW + vc0
GLOBAL_OFFSET_C 12, 6, 1, sgprWorkGroup2, 8
v_mov_b32 v8, v12                                  // temp store offset 0
v_mov_b32 v9, v13                                  // temp store offset 1
_v_add_co_u32 v12, vcc, v4, v8                     // addrVgpr = C + index*bytes (lo)
_v_addc_co_u32 v13, vcc, v5, v9, vcc               // addrVgpr = C + index*bytes (hi)
_global_load_b64 v[14:15], v[12:13], off, offset:0,  sc0 sc1 // load C for beta calc
GLOBAL_OFFSET_D 12, 6, 1, sgprWorkGroup2, 8
v_mov_b32 v8, v12                                  // temp store offset 0
v_mov_b32 v9, v13                                  // temp store offset 1
_v_add_co_u32 v12, vcc, v2, v8                     // addrVgpr = D + index*bytes (lo)
_v_addc_co_u32 v13, vcc, v3, v9, vcc               // addrVgpr = D + index*bytes (hi)
s_sleep 7 // optimization: sync and wait
s_barrier
v_accvgpr_read_b32 v[vgprValuC+16], acc22 // copy acc to vreg[28]
v_accvgpr_read_b32 v[vgprValuC+17], acc23 // copy acc to vreg[29]
s_nop 1                                            // 2 wait states required before reading vgpr

/* rC *= alpha batchElements=[(3, 2, 0, 0)] */
v_mul_f64 v[vgprValuC+16:vgprValuC+16+1], s[sgprAlpha:sgprAlpha+1], v[vgprValuC+16:vgprValuC+16+1] // *= alpha
s_waitcnt vmcnt(0)                                 // wait C

/* apply mask, calc new C and issue writes */
v_fma_f64 v[vgprValuC+16:vgprValuC+16+1], v[14:15], s[sgprBeta:sgprBeta+1], v[vgprValuC+16:vgprValuC+16+1] // finalSum = sum*alpha + C*beta
_global_store_b64 v[12:13], v[16:17], off,  sc0 sc1 // store D
s_nop 0                                            // 1 wait state required when next inst writes vgprs held by previous dwordx4 store inst
/* optSingleColVgpr=0 optSharedColVgpr=0 optSGPRUsage=None optSrdIncForRow=0 */
s_sleep 7 // optimization: sync and wait
s_barrier

/******************************************/
/* Global Write Alpha Beta Batch #15 (d1,d0,vc1,vc0) = */
/*    (3,3,0,0:vw1)                       */
/******************************************/

/* calc coords, apply mask, and issue loads (if necessary) */
/* (d1,vc1,d0,vc0)=(3,0,3,0) */
_v_add_co_u32 v6, vcc, v0, 48                      // coord0.1: coord0 += d0*sg0*VW + vc0
GLOBAL_OFFSET_C 12, 6, 1, sgprWorkGroup2, 8
v_mov_b32 v8, v12                                  // temp store offset 0
v_mov_b32 v9, v13                                  // temp store offset 1
_v_add_co_u32 v12, vcc, v4, v8                     // addrVgpr = C + index*bytes (lo)
_v_addc_co_u32 v13, vcc, v5, v9, vcc               // addrVgpr = C + index*bytes (hi)
_global_load_b64 v[14:15], v[12:13], off, offset:0,  sc0 sc1 // load C for beta calc
GLOBAL_OFFSET_D 12, 6, 1, sgprWorkGroup2, 8
v_mov_b32 v8, v12                                  // temp store offset 0
v_mov_b32 v9, v13                                  // temp store offset 1
_v_add_co_u32 v12, vcc, v2, v8                     // addrVgpr = D + index*bytes (lo)
_v_addc_co_u32 v13, vcc, v3, v9, vcc               // addrVgpr = D + index*bytes (hi)
s_sleep 7 // optimization: sync and wait
s_barrier
v_accvgpr_read_b32 v[vgprValuC+16], acc30 // copy acc to vreg[30]
v_accvgpr_read_b32 v[vgprValuC+17], acc31 // copy acc to vreg[31]
s_nop 1                                            // 2 wait states required before reading vgpr

/* rC *= alpha batchElements=[(3, 3, 0, 0)] */
v_mul_f64 v[vgprValuC+16:vgprValuC+16+1], s[sgprAlpha:sgprAlpha+1], v[vgprValuC+16:vgprValuC+16+1] // *= alpha
s_waitcnt vmcnt(0)                                 // wait C

/* apply mask, calc new C and issue writes */
v_fma_f64 v[vgprValuC+16:vgprValuC+16+1], v[14:15], s[sgprBeta:sgprBeta+1], v[vgprValuC+16:vgprValuC+16+1] // finalSum = sum*alpha + C*beta
_global_store_b64 v[12:13], v[16:17], off,  sc0 sc1 // store D
s_nop 0                                            // 1 wait state required when next inst writes vgprs held by previous dwordx4 store inst
/* optSingleColVgpr=0 optSharedColVgpr=0 optSGPRUsage=None optSrdIncForRow=0 */
s_sleep 7 // optimization: sync and wait
s_barrier

/******************************************/
/* Global Write Alpha Beta Batch #16 (d1,d0,vc1,vc0) = */
/*    (4,0,0,0:vw1)                       */
/******************************************/

/* calc coords, apply mask, and issue loads (if necessary) */
/* (d1,vc1,d0,vc0)=(4,0,0,0) */
_v_add_co_u32 v1, vcc, v1, 52                      // coord1.1: coord1Vgpr += d1*sg1*VW + vc1
GLOBAL_OFFSET_C 12, 0, 1, sgprWorkGroup2, 8
v_mov_b32 v8, v12                                  // temp store offset 0
v_mov_b32 v9, v13                                  // temp store offset 1
_v_add_co_u32 v12, vcc, v4, v8                     // addrVgpr = C + index*bytes (lo)
_v_addc_co_u32 v13, vcc, v5, v9, vcc               // addrVgpr = C + index*bytes (hi)
_global_load_b64 v[14:15], v[12:13], off, offset:0,  sc0 sc1 // load C for beta calc
GLOBAL_OFFSET_D 12, 0, 1, sgprWorkGroup2, 8
v_mov_b32 v8, v12                                  // temp store offset 0
v_mov_b32 v9, v13                                  // temp store offset 1
_v_add_co_u32 v12, vcc, v2, v8                     // addrVgpr = D + index*bytes (lo)
_v_addc_co_u32 v13, vcc, v3, v9, vcc               // addrVgpr = D + index*bytes (hi)
s_sleep 7 // optimization: sync and wait
s_barrier
v_accvgpr_read_b32 v[vgprValuC+16], acc32 // copy acc to vreg[32]
v_accvgpr_read_b32 v[vgprValuC+17], acc33 // copy acc to vreg[33]
s_nop 1                                            // 2 wait states required before reading vgpr

/* rC *= alpha batchElements=[(4, 0, 0, 0)] */
v_mul_f64 v[vgprValuC+16:vgprValuC+16+1], s[sgprAlpha:sgprAlpha+1], v[vgprValuC+16:vgprValuC+16+1] // *= alpha
s_waitcnt vmcnt(0)                                 // wait C

/* apply mask, calc new C and issue writes */
v_fma_f64 v[vgprValuC+16:vgprValuC+16+1], v[14:15], s[sgprBeta:sgprBeta+1], v[vgprValuC+16:vgprValuC+16+1] // finalSum = sum*alpha + C*beta
_global_store_b64 v[12:13], v[16:17], off,  sc0 sc1 // store D
s_nop 0                                            // 1 wait state required when next inst writes vgprs held by previous dwordx4 store inst
/* optSingleColVgpr=0 optSharedColVgpr=0 optSGPRUsage=None optSrdIncForRow=0 */
s_sleep 7 // optimization: sync and wait
s_barrier

/******************************************/
/* Global Write Alpha Beta Batch #17 (d1,d0,vc1,vc0) = */
/*    (4,1,0,0:vw1)                       */
/******************************************/

/* calc coords, apply mask, and issue loads (if necessary) */
/* (d1,vc1,d0,vc0)=(4,0,1,0) */
_v_add_co_u32 v6, vcc, v0, 16                      // coord0.1: coord0 += d0*sg0*VW + vc0
GLOBAL_OFFSET_C 12, 6, 1, sgprWorkGroup2, 8
v_mov_b32 v8, v12                                  // temp store offset 0
v_mov_b32 v9, v13                                  // temp store offset 1
_v_add_co_u32 v12, vcc, v4, v8                     // addrVgpr = C + index*bytes (lo)
_v_addc_co_u32 v13, vcc, v5, v9, vcc               // addrVgpr = C + index*bytes (hi)
_global_load_b64 v[14:15], v[12:13], off, offset:0,  sc0 sc1 // load C for beta calc
GLOBAL_OFFSET_D 12, 6, 1, sgprWorkGroup2, 8
v_mov_b32 v8, v12                                  // temp store offset 0
v_mov_b32 v9, v13                                  // temp store offset 1
_v_add_co_u32 v12, vcc, v2, v8                     // addrVgpr = D + index*bytes (lo)
_v_addc_co_u32 v13, vcc, v3, v9, vcc               // addrVgpr = D + index*bytes (hi)
s_sleep 7 // optimization: sync and wait
s_barrier
v_accvgpr_read_b32 v[vgprValuC+16], acc40 // copy acc to vreg[34]
v_accvgpr_read_b32 v[vgprValuC+17], acc41 // copy acc to vreg[35]
s_nop 1                                            // 2 wait states required before reading vgpr

/* rC *= alpha batchElements=[(4, 1, 0, 0)] */
v_mul_f64 v[vgprValuC+16:vgprValuC+16+1], s[sgprAlpha:sgprAlpha+1], v[vgprValuC+16:vgprValuC+16+1] // *= alpha
s_waitcnt vmcnt(0)                                 // wait C

/* apply mask, calc new C and issue writes */
v_fma_f64 v[vgprValuC+16:vgprValuC+16+1], v[14:15], s[sgprBeta:sgprBeta+1], v[vgprValuC+16:vgprValuC+16+1] // finalSum = sum*alpha + C*beta
_global_store_b64 v[12:13], v[16:17], off,  sc0 sc1 // store D
s_nop 0                                            // 1 wait state required when next inst writes vgprs held by previous dwordx4 store inst
/* optSingleColVgpr=0 optSharedColVgpr=0 optSGPRUsage=None optSrdIncForRow=0 */
s_sleep 7 // optimization: sync and wait
s_barrier

/******************************************/
/* Global Write Alpha Beta Batch #18 (d1,d0,vc1,vc0) = */
/*    (4,2,0,0:vw1)                       */
/******************************************/

/* calc coords, apply mask, and issue loads (if necessary) */
/* (d1,vc1,d0,vc0)=(4,0,2,0) */
_v_add_co_u32 v6, vcc, v0, 32                      // coord0.1: coord0 += d0*sg0*VW + vc0
GLOBAL_OFFSET_C 12, 6, 1, sgprWorkGroup2, 8
v_mov_b32 v8, v12                                  // temp store offset 0
v_mov_b32 v9, v13                                  // temp store offset 1
_v_add_co_u32 v12, vcc, v4, v8                     // addrVgpr = C + index*bytes (lo)
_v_addc_co_u32 v13, vcc, v5, v9, vcc               // addrVgpr = C + index*bytes (hi)
_global_load_b64 v[14:15], v[12:13], off, offset:0,  sc0 sc1 // load C for beta calc
GLOBAL_OFFSET_D 12, 6, 1, sgprWorkGroup2, 8
v_mov_b32 v8, v12                                  // temp store offset 0
v_mov_b32 v9, v13                                  // temp store offset 1
_v_add_co_u32 v12, vcc, v2, v8                     // addrVgpr = D + index*bytes (lo)
_v_addc_co_u32 v13, vcc, v3, v9, vcc               // addrVgpr = D + index*bytes (hi)
s_sleep 7 // optimization: sync and wait
s_barrier
v_accvgpr_read_b32 v[vgprValuC+16], acc48 // copy acc to vreg[36]
v_accvgpr_read_b32 v[vgprValuC+17], acc49 // copy acc to vreg[37]
s_nop 1                                            // 2 wait states required before reading vgpr

/* rC *= alpha batchElements=[(4, 2, 0, 0)] */
v_mul_f64 v[vgprValuC+16:vgprValuC+16+1], s[sgprAlpha:sgprAlpha+1], v[vgprValuC+16:vgprValuC+16+1] // *= alpha
s_waitcnt vmcnt(0)                                 // wait C

/* apply mask, calc new C and issue writes */
v_fma_f64 v[vgprValuC+16:vgprValuC+16+1], v[14:15], s[sgprBeta:sgprBeta+1], v[vgprValuC+16:vgprValuC+16+1] // finalSum = sum*alpha + C*beta
_global_store_b64 v[12:13], v[16:17], off,  sc0 sc1 // store D
s_nop 0                                            // 1 wait state required when next inst writes vgprs held by previous dwordx4 store inst
/* optSingleColVgpr=0 optSharedColVgpr=0 optSGPRUsage=None optSrdIncForRow=0 */
s_sleep 7 // optimization: sync and wait
s_barrier

/******************************************/
/* Global Write Alpha Beta Batch #19 (d1,d0,vc1,vc0) = */
/*    (4,3,0,0:vw1)                       */
/******************************************/

/* calc coords, apply mask, and issue loads (if necessary) */
/* (d1,vc1,d0,vc0)=(4,0,3,0) */
_v_add_co_u32 v6, vcc, v0, 48                      // coord0.1: coord0 += d0*sg0*VW + vc0
GLOBAL_OFFSET_C 12, 6, 1, sgprWorkGroup2, 8
v_mov_b32 v8, v12                                  // temp store offset 0
v_mov_b32 v9, v13                                  // temp store offset 1
_v_add_co_u32 v12, vcc, v4, v8                     // addrVgpr = C + index*bytes (lo)
_v_addc_co_u32 v13, vcc, v5, v9, vcc               // addrVgpr = C + index*bytes (hi)
_global_load_b64 v[14:15], v[12:13], off, offset:0,  sc0 sc1 // load C for beta calc
GLOBAL_OFFSET_D 12, 6, 1, sgprWorkGroup2, 8
v_mov_b32 v8, v12                                  // temp store offset 0
v_mov_b32 v9, v13                                  // temp store offset 1
_v_add_co_u32 v12, vcc, v2, v8                     // addrVgpr = D + index*bytes (lo)
_v_addc_co_u32 v13, vcc, v3, v9, vcc               // addrVgpr = D + index*bytes (hi)
s_sleep 7 // optimization: sync and wait
s_barrier
v_accvgpr_read_b32 v[vgprValuC+16], acc56 // copy acc to vreg[38]
v_accvgpr_read_b32 v[vgprValuC+17], acc57 // copy acc to vreg[39]
s_nop 1                                            // 2 wait states required before reading vgpr

/* rC *= alpha batchElements=[(4, 3, 0, 0)] */
v_mul_f64 v[vgprValuC+16:vgprValuC+16+1], s[sgprAlpha:sgprAlpha+1], v[vgprValuC+16:vgprValuC+16+1] // *= alpha
s_waitcnt vmcnt(0)                                 // wait C

/* apply mask, calc new C and issue writes */
v_fma_f64 v[vgprValuC+16:vgprValuC+16+1], v[14:15], s[sgprBeta:sgprBeta+1], v[vgprValuC+16:vgprValuC+16+1] // finalSum = sum*alpha + C*beta
_global_store_b64 v[12:13], v[16:17], off,  sc0 sc1 // store D
s_nop 0                                            // 1 wait state required when next inst writes vgprs held by previous dwordx4 store inst
/* optSingleColVgpr=0 optSharedColVgpr=0 optSGPRUsage=None optSrdIncForRow=0 */
s_sleep 7 // optimization: sync and wait
s_barrier

/******************************************/
/* Global Write Alpha Beta Batch #20 (d1,d0,vc1,vc0) = */
/*    (5,0,0,0:vw1)                       */
/******************************************/

/* calc coords, apply mask, and issue loads (if necessary) */
/* (d1,vc1,d0,vc0)=(5,0,0,0) */
_v_add_co_u32 v1, vcc, v1, 4                       // coord1.1: coord1Vgpr += d1*sg1*VW + vc1
GLOBAL_OFFSET_C 12, 0, 1, sgprWorkGroup2, 8
v_mov_b32 v8, v12                                  // temp store offset 0
v_mov_b32 v9, v13                                  // temp store offset 1
_v_add_co_u32 v12, vcc, v4, v8                     // addrVgpr = C + index*bytes (lo)
_v_addc_co_u32 v13, vcc, v5, v9, vcc               // addrVgpr = C + index*bytes (hi)
_global_load_b64 v[14:15], v[12:13], off, offset:0,  sc0 sc1 // load C for beta calc
GLOBAL_OFFSET_D 12, 0, 1, sgprWorkGroup2, 8
v_mov_b32 v8, v12                                  // temp store offset 0
v_mov_b32 v9, v13                                  // temp store offset 1
_v_add_co_u32 v12, vcc, v2, v8                     // addrVgpr = D + index*bytes (lo)
_v_addc_co_u32 v13, vcc, v3, v9, vcc               // addrVgpr = D + index*bytes (hi)
s_sleep 7 // optimization: sync and wait
s_barrier
v_accvgpr_read_b32 v[vgprValuC+16], acc34 // copy acc to vreg[40]
v_accvgpr_read_b32 v[vgprValuC+17], acc35 // copy acc to vreg[41]
s_nop 1                                            // 2 wait states required before reading vgpr

/* rC *= alpha batchElements=[(5, 0, 0, 0)] */
v_mul_f64 v[vgprValuC+16:vgprValuC+16+1], s[sgprAlpha:sgprAlpha+1], v[vgprValuC+16:vgprValuC+16+1] // *= alpha
s_waitcnt vmcnt(0)                                 // wait C

/* apply mask, calc new C and issue writes */
v_fma_f64 v[vgprValuC+16:vgprValuC+16+1], v[14:15], s[sgprBeta:sgprBeta+1], v[vgprValuC+16:vgprValuC+16+1] // finalSum = sum*alpha + C*beta
_global_store_b64 v[12:13], v[16:17], off,  sc0 sc1 // store D
s_nop 0                                            // 1 wait state required when next inst writes vgprs held by previous dwordx4 store inst
/* optSingleColVgpr=0 optSharedColVgpr=0 optSGPRUsage=None optSrdIncForRow=0 */
s_sleep 7 // optimization: sync and wait
s_barrier

/******************************************/
/* Global Write Alpha Beta Batch #21 (d1,d0,vc1,vc0) = */
/*    (5,1,0,0:vw1)                       */
/******************************************/

/* calc coords, apply mask, and issue loads (if necessary) */
/* (d1,vc1,d0,vc0)=(5,0,1,0) */
_v_add_co_u32 v6, vcc, v0, 16                      // coord0.1: coord0 += d0*sg0*VW + vc0
GLOBAL_OFFSET_C 12, 6, 1, sgprWorkGroup2, 8
v_mov_b32 v8, v12                                  // temp store offset 0
v_mov_b32 v9, v13                                  // temp store offset 1
_v_add_co_u32 v12, vcc, v4, v8                     // addrVgpr = C + index*bytes (lo)
_v_addc_co_u32 v13, vcc, v5, v9, vcc               // addrVgpr = C + index*bytes (hi)
_global_load_b64 v[14:15], v[12:13], off, offset:0,  sc0 sc1 // load C for beta calc
GLOBAL_OFFSET_D 12, 6, 1, sgprWorkGroup2, 8
v_mov_b32 v8, v12                                  // temp store offset 0
v_mov_b32 v9, v13                                  // temp store offset 1
_v_add_co_u32 v12, vcc, v2, v8                     // addrVgpr = D + index*bytes (lo)
_v_addc_co_u32 v13, vcc, v3, v9, vcc               // addrVgpr = D + index*bytes (hi)
s_sleep 7 // optimization: sync and wait
s_barrier
v_accvgpr_read_b32 v[vgprValuC+16], acc42 // copy acc to vreg[42]
v_accvgpr_read_b32 v[vgprValuC+17], acc43 // copy acc to vreg[43]
s_nop 1                                            // 2 wait states required before reading vgpr

/* rC *= alpha batchElements=[(5, 1, 0, 0)] */
v_mul_f64 v[vgprValuC+16:vgprValuC+16+1], s[sgprAlpha:sgprAlpha+1], v[vgprValuC+16:vgprValuC+16+1] // *= alpha
s_waitcnt vmcnt(0)                                 // wait C

/* apply mask, calc new C and issue writes */
v_fma_f64 v[vgprValuC+16:vgprValuC+16+1], v[14:15], s[sgprBeta:sgprBeta+1], v[vgprValuC+16:vgprValuC+16+1] // finalSum = sum*alpha + C*beta
_global_store_b64 v[12:13], v[16:17], off,  sc0 sc1 // store D
s_nop 0                                            // 1 wait state required when next inst writes vgprs held by previous dwordx4 store inst
/* optSingleColVgpr=0 optSharedColVgpr=0 optSGPRUsage=None optSrdIncForRow=0 */
s_sleep 7 // optimization: sync and wait
s_barrier

/******************************************/
/* Global Write Alpha Beta Batch #22 (d1,d0,vc1,vc0) = */
/*    (5,2,0,0:vw1)                       */
/******************************************/

/* calc coords, apply mask, and issue loads (if necessary) */
/* (d1,vc1,d0,vc0)=(5,0,2,0) */
_v_add_co_u32 v6, vcc, v0, 32                      // coord0.1: coord0 += d0*sg0*VW + vc0
GLOBAL_OFFSET_C 12, 6, 1, sgprWorkGroup2, 8
v_mov_b32 v8, v12                                  // temp store offset 0
v_mov_b32 v9, v13                                  // temp store offset 1
_v_add_co_u32 v12, vcc, v4, v8                     // addrVgpr = C + index*bytes (lo)
_v_addc_co_u32 v13, vcc, v5, v9, vcc               // addrVgpr = C + index*bytes (hi)
_global_load_b64 v[14:15], v[12:13], off, offset:0,  sc0 sc1 // load C for beta calc
GLOBAL_OFFSET_D 12, 6, 1, sgprWorkGroup2, 8
v_mov_b32 v8, v12                                  // temp store offset 0
v_mov_b32 v9, v13                                  // temp store offset 1
_v_add_co_u32 v12, vcc, v2, v8                     // addrVgpr = D + index*bytes (lo)
_v_addc_co_u32 v13, vcc, v3, v9, vcc               // addrVgpr = D + index*bytes (hi)
s_sleep 7 // optimization: sync and wait
s_barrier
v_accvgpr_read_b32 v[vgprValuC+16], acc50 // copy acc to vreg[44]
v_accvgpr_read_b32 v[vgprValuC+17], acc51 // copy acc to vreg[45]
s_nop 1                                            // 2 wait states required before reading vgpr

/* rC *= alpha batchElements=[(5, 2, 0, 0)] */
v_mul_f64 v[vgprValuC+16:vgprValuC+16+1], s[sgprAlpha:sgprAlpha+1], v[vgprValuC+16:vgprValuC+16+1] // *= alpha
s_waitcnt vmcnt(0)                                 // wait C

/* apply mask, calc new C and issue writes */
v_fma_f64 v[vgprValuC+16:vgprValuC+16+1], v[14:15], s[sgprBeta:sgprBeta+1], v[vgprValuC+16:vgprValuC+16+1] // finalSum = sum*alpha + C*beta
_global_store_b64 v[12:13], v[16:17], off,  sc0 sc1 // store D
s_nop 0                                            // 1 wait state required when next inst writes vgprs held by previous dwordx4 store inst
/* optSingleColVgpr=0 optSharedColVgpr=0 optSGPRUsage=None optSrdIncForRow=0 */
s_sleep 7 // optimization: sync and wait
s_barrier

/******************************************/
/* Global Write Alpha Beta Batch #23 (d1,d0,vc1,vc0) = */
/*    (5,3,0,0:vw1)                       */
/******************************************/

/* calc coords, apply mask, and issue loads (if necessary) */
/* (d1,vc1,d0,vc0)=(5,0,3,0) */
_v_add_co_u32 v6, vcc, v0, 48                      // coord0.1: coord0 += d0*sg0*VW + vc0
GLOBAL_OFFSET_C 12, 6, 1, sgprWorkGroup2, 8
v_mov_b32 v8, v12                                  // temp store offset 0
v_mov_b32 v9, v13                                  // temp store offset 1
_v_add_co_u32 v12, vcc, v4, v8                     // addrVgpr = C + index*bytes (lo)
_v_addc_co_u32 v13, vcc, v5, v9, vcc               // addrVgpr = C + index*bytes (hi)
_global_load_b64 v[14:15], v[12:13], off, offset:0,  sc0 sc1 // load C for beta calc
GLOBAL_OFFSET_D 12, 6, 1, sgprWorkGroup2, 8
v_mov_b32 v8, v12                                  // temp store offset 0
v_mov_b32 v9, v13                                  // temp store offset 1
_v_add_co_u32 v12, vcc, v2, v8                     // addrVgpr = D + index*bytes (lo)
_v_addc_co_u32 v13, vcc, v3, v9, vcc               // addrVgpr = D + index*bytes (hi)
s_sleep 7 // optimization: sync and wait
s_barrier
v_accvgpr_read_b32 v[vgprValuC+16], acc58 // copy acc to vreg[46]
v_accvgpr_read_b32 v[vgprValuC+17], acc59 // copy acc to vreg[47]
s_nop 1                                            // 2 wait states required before reading vgpr

/* rC *= alpha batchElements=[(5, 3, 0, 0)] */
v_mul_f64 v[vgprValuC+16:vgprValuC+16+1], s[sgprAlpha:sgprAlpha+1], v[vgprValuC+16:vgprValuC+16+1] // *= alpha
s_waitcnt vmcnt(0)                                 // wait C

/* apply mask, calc new C and issue writes */
v_fma_f64 v[vgprValuC+16:vgprValuC+16+1], v[14:15], s[sgprBeta:sgprBeta+1], v[vgprValuC+16:vgprValuC+16+1] // finalSum = sum*alpha + C*beta
_global_store_b64 v[12:13], v[16:17], off,  sc0 sc1 // store D
s_nop 0                                            // 1 wait state required when next inst writes vgprs held by previous dwordx4 store inst
/* optSingleColVgpr=0 optSharedColVgpr=0 optSGPRUsage=None optSrdIncForRow=0 */
s_sleep 7 // optimization: sync and wait
s_barrier

/******************************************/
/* Global Write Alpha Beta Batch #24 (d1,d0,vc1,vc0) = */
/*    (6,0,0,0:vw1)                       */
/******************************************/

/* calc coords, apply mask, and issue loads (if necessary) */
/* (d1,vc1,d0,vc0)=(6,0,0,0) */
_v_add_co_u32 v1, vcc, v1, 4                       // coord1.1: coord1Vgpr += d1*sg1*VW + vc1
GLOBAL_OFFSET_C 12, 0, 1, sgprWorkGroup2, 8
v_mov_b32 v8, v12                                  // temp store offset 0
v_mov_b32 v9, v13                                  // temp store offset 1
_v_add_co_u32 v12, vcc, v4, v8                     // addrVgpr = C + index*bytes (lo)
_v_addc_co_u32 v13, vcc, v5, v9, vcc               // addrVgpr = C + index*bytes (hi)
_global_load_b64 v[14:15], v[12:13], off, offset:0,  sc0 sc1 // load C for beta calc
GLOBAL_OFFSET_D 12, 0, 1, sgprWorkGroup2, 8
v_mov_b32 v8, v12                                  // temp store offset 0
v_mov_b32 v9, v13                                  // temp store offset 1
_v_add_co_u32 v12, vcc, v2, v8                     // addrVgpr = D + index*bytes (lo)
_v_addc_co_u32 v13, vcc, v3, v9, vcc               // addrVgpr = D + index*bytes (hi)
s_sleep 7 // optimization: sync and wait
s_barrier
v_accvgpr_read_b32 v[vgprValuC+16], acc36 // copy acc to vreg[48]
v_accvgpr_read_b32 v[vgprValuC+17], acc37 // copy acc to vreg[49]
s_nop 1                                            // 2 wait states required before reading vgpr

/* rC *= alpha batchElements=[(6, 0, 0, 0)] */
v_mul_f64 v[vgprValuC+16:vgprValuC+16+1], s[sgprAlpha:sgprAlpha+1], v[vgprValuC+16:vgprValuC+16+1] // *= alpha
s_waitcnt vmcnt(0)                                 // wait C

/* apply mask, calc new C and issue writes */
v_fma_f64 v[vgprValuC+16:vgprValuC+16+1], v[14:15], s[sgprBeta:sgprBeta+1], v[vgprValuC+16:vgprValuC+16+1] // finalSum = sum*alpha + C*beta
_global_store_b64 v[12:13], v[16:17], off,  sc0 sc1 // store D
s_nop 0                                            // 1 wait state required when next inst writes vgprs held by previous dwordx4 store inst
/* optSingleColVgpr=0 optSharedColVgpr=0 optSGPRUsage=None optSrdIncForRow=0 */
s_sleep 7 // optimization: sync and wait
s_barrier

/******************************************/
/* Global Write Alpha Beta Batch #25 (d1,d0,vc1,vc0) = */
/*    (6,1,0,0:vw1)                       */
/******************************************/

/* calc coords, apply mask, and issue loads (if necessary) */
/* (d1,vc1,d0,vc0)=(6,0,1,0) */
_v_add_co_u32 v6, vcc, v0, 16                      // coord0.1: coord0 += d0*sg0*VW + vc0
GLOBAL_OFFSET_C 12, 6, 1, sgprWorkGroup2, 8
v_mov_b32 v8, v12                                  // temp store offset 0
v_mov_b32 v9, v13                                  // temp store offset 1
_v_add_co_u32 v12, vcc, v4, v8                     // addrVgpr = C + index*bytes (lo)
_v_addc_co_u32 v13, vcc, v5, v9, vcc               // addrVgpr = C + index*bytes (hi)
_global_load_b64 v[14:15], v[12:13], off, offset:0,  sc0 sc1 // load C for beta calc
GLOBAL_OFFSET_D 12, 6, 1, sgprWorkGroup2, 8
v_mov_b32 v8, v12                                  // temp store offset 0
v_mov_b32 v9, v13                                  // temp store offset 1
_v_add_co_u32 v12, vcc, v2, v8                     // addrVgpr = D + index*bytes (lo)
_v_addc_co_u32 v13, vcc, v3, v9, vcc               // addrVgpr = D + index*bytes (hi)
s_sleep 7 // optimization: sync and wait
s_barrier
v_accvgpr_read_b32 v[vgprValuC+16], acc44 // copy acc to vreg[50]
v_accvgpr_read_b32 v[vgprValuC+17], acc45 // copy acc to vreg[51]
s_nop 1                                            // 2 wait states required before reading vgpr

/* rC *= alpha batchElements=[(6, 1, 0, 0)] */
v_mul_f64 v[vgprValuC+16:vgprValuC+16+1], s[sgprAlpha:sgprAlpha+1], v[vgprValuC+16:vgprValuC+16+1] // *= alpha
s_waitcnt vmcnt(0)                                 // wait C

/* apply mask, calc new C and issue writes */
v_fma_f64 v[vgprValuC+16:vgprValuC+16+1], v[14:15], s[sgprBeta:sgprBeta+1], v[vgprValuC+16:vgprValuC+16+1] // finalSum = sum*alpha + C*beta
_global_store_b64 v[12:13], v[16:17], off,  sc0 sc1 // store D
s_nop 0                                            // 1 wait state required when next inst writes vgprs held by previous dwordx4 store inst
/* optSingleColVgpr=0 optSharedColVgpr=0 optSGPRUsage=None optSrdIncForRow=0 */
s_sleep 7 // optimization: sync and wait
s_barrier

/******************************************/
/* Global Write Alpha Beta Batch #26 (d1,d0,vc1,vc0) = */
/*    (6,2,0,0:vw1)                       */
/******************************************/

/* calc coords, apply mask, and issue loads (if necessary) */
/* (d1,vc1,d0,vc0)=(6,0,2,0) */
_v_add_co_u32 v6, vcc, v0, 32                      // coord0.1: coord0 += d0*sg0*VW + vc0
GLOBAL_OFFSET_C 12, 6, 1, sgprWorkGroup2, 8
v_mov_b32 v8, v12                                  // temp store offset 0
v_mov_b32 v9, v13                                  // temp store offset 1
_v_add_co_u32 v12, vcc, v4, v8                     // addrVgpr = C + index*bytes (lo)
_v_addc_co_u32 v13, vcc, v5, v9, vcc               // addrVgpr = C + index*bytes (hi)
_global_load_b64 v[14:15], v[12:13], off, offset:0,  sc0 sc1 // load C for beta calc
GLOBAL_OFFSET_D 12, 6, 1, sgprWorkGroup2, 8
v_mov_b32 v8, v12                                  // temp store offset 0
v_mov_b32 v9, v13                                  // temp store offset 1
_v_add_co_u32 v12, vcc, v2, v8                     // addrVgpr = D + index*bytes (lo)
_v_addc_co_u32 v13, vcc, v3, v9, vcc               // addrVgpr = D + index*bytes (hi)
s_sleep 7 // optimization: sync and wait
s_barrier
v_accvgpr_read_b32 v[vgprValuC+16], acc52 // copy acc to vreg[52]
v_accvgpr_read_b32 v[vgprValuC+17], acc53 // copy acc to vreg[53]
s_nop 1                                            // 2 wait states required before reading vgpr

/* rC *= alpha batchElements=[(6, 2, 0, 0)] */
v_mul_f64 v[vgprValuC+16:vgprValuC+16+1], s[sgprAlpha:sgprAlpha+1], v[vgprValuC+16:vgprValuC+16+1] // *= alpha
s_waitcnt vmcnt(0)                                 // wait C

/* apply mask, calc new C and issue writes */
v_fma_f64 v[vgprValuC+16:vgprValuC+16+1], v[14:15], s[sgprBeta:sgprBeta+1], v[vgprValuC+16:vgprValuC+16+1] // finalSum = sum*alpha + C*beta
_global_store_b64 v[12:13], v[16:17], off,  sc0 sc1 // store D
s_nop 0                                            // 1 wait state required when next inst writes vgprs held by previous dwordx4 store inst
/* optSingleColVgpr=0 optSharedColVgpr=0 optSGPRUsage=None optSrdIncForRow=0 */
s_sleep 7 // optimization: sync and wait
s_barrier

/******************************************/
/* Global Write Alpha Beta Batch #27 (d1,d0,vc1,vc0) = */
/*    (6,3,0,0:vw1)                       */
/******************************************/

/* calc coords, apply mask, and issue loads (if necessary) */
/* (d1,vc1,d0,vc0)=(6,0,3,0) */
_v_add_co_u32 v6, vcc, v0, 48                      // coord0.1: coord0 += d0*sg0*VW + vc0
GLOBAL_OFFSET_C 12, 6, 1, sgprWorkGroup2, 8
v_mov_b32 v8, v12                                  // temp store offset 0
v_mov_b32 v9, v13                                  // temp store offset 1
_v_add_co_u32 v12, vcc, v4, v8                     // addrVgpr = C + index*bytes (lo)
_v_addc_co_u32 v13, vcc, v5, v9, vcc               // addrVgpr = C + index*bytes (hi)
_global_load_b64 v[14:15], v[12:13], off, offset:0,  sc0 sc1 // load C for beta calc
GLOBAL_OFFSET_D 12, 6, 1, sgprWorkGroup2, 8
v_mov_b32 v8, v12                                  // temp store offset 0
v_mov_b32 v9, v13                                  // temp store offset 1
_v_add_co_u32 v12, vcc, v2, v8                     // addrVgpr = D + index*bytes (lo)
_v_addc_co_u32 v13, vcc, v3, v9, vcc               // addrVgpr = D + index*bytes (hi)
s_sleep 7 // optimization: sync and wait
s_barrier
v_accvgpr_read_b32 v[vgprValuC+16], acc60 // copy acc to vreg[54]
v_accvgpr_read_b32 v[vgprValuC+17], acc61 // copy acc to vreg[55]
s_nop 1                                            // 2 wait states required before reading vgpr

/* rC *= alpha batchElements=[(6, 3, 0, 0)] */
v_mul_f64 v[vgprValuC+16:vgprValuC+16+1], s[sgprAlpha:sgprAlpha+1], v[vgprValuC+16:vgprValuC+16+1] // *= alpha
s_waitcnt vmcnt(0)                                 // wait C

/* apply mask, calc new C and issue writes */
v_fma_f64 v[vgprValuC+16:vgprValuC+16+1], v[14:15], s[sgprBeta:sgprBeta+1], v[vgprValuC+16:vgprValuC+16+1] // finalSum = sum*alpha + C*beta
_global_store_b64 v[12:13], v[16:17], off,  sc0 sc1 // store D
s_nop 0                                            // 1 wait state required when next inst writes vgprs held by previous dwordx4 store inst
/* optSingleColVgpr=0 optSharedColVgpr=0 optSGPRUsage=None optSrdIncForRow=0 */
s_sleep 7 // optimization: sync and wait
s_barrier

/******************************************/
/* Global Write Alpha Beta Batch #28 (d1,d0,vc1,vc0) = */
/*    (7,0,0,0:vw1)                       */
/******************************************/

/* calc coords, apply mask, and issue loads (if necessary) */
/* (d1,vc1,d0,vc0)=(7,0,0,0) */
_v_add_co_u32 v1, vcc, v1, 4                       // coord1.1: coord1Vgpr += d1*sg1*VW + vc1
GLOBAL_OFFSET_C 12, 0, 1, sgprWorkGroup2, 8
v_mov_b32 v8, v12                                  // temp store offset 0
v_mov_b32 v9, v13                                  // temp store offset 1
_v_add_co_u32 v12, vcc, v4, v8                     // addrVgpr = C + index*bytes (lo)
_v_addc_co_u32 v13, vcc, v5, v9, vcc               // addrVgpr = C + index*bytes (hi)
_global_load_b64 v[14:15], v[12:13], off, offset:0,  sc0 sc1 // load C for beta calc
GLOBAL_OFFSET_D 12, 0, 1, sgprWorkGroup2, 8
v_mov_b32 v8, v12                                  // temp store offset 0
v_mov_b32 v9, v13                                  // temp store offset 1
_v_add_co_u32 v12, vcc, v2, v8                     // addrVgpr = D + index*bytes (lo)
_v_addc_co_u32 v13, vcc, v3, v9, vcc               // addrVgpr = D + index*bytes (hi)
s_sleep 7 // optimization: sync and wait
s_barrier
v_accvgpr_read_b32 v[vgprValuC+16], acc38 // copy acc to vreg[56]
v_accvgpr_read_b32 v[vgprValuC+17], acc39 // copy acc to vreg[57]
s_nop 1                                            // 2 wait states required before reading vgpr

/* rC *= alpha batchElements=[(7, 0, 0, 0)] */
v_mul_f64 v[vgprValuC+16:vgprValuC+16+1], s[sgprAlpha:sgprAlpha+1], v[vgprValuC+16:vgprValuC+16+1] // *= alpha
s_waitcnt vmcnt(0)                                 // wait C

/* apply mask, calc new C and issue writes */
v_fma_f64 v[vgprValuC+16:vgprValuC+16+1], v[14:15], s[sgprBeta:sgprBeta+1], v[vgprValuC+16:vgprValuC+16+1] // finalSum = sum*alpha + C*beta
_global_store_b64 v[12:13], v[16:17], off,  sc0 sc1 // store D
s_nop 0                                            // 1 wait state required when next inst writes vgprs held by previous dwordx4 store inst
/* optSingleColVgpr=0 optSharedColVgpr=0 optSGPRUsage=None optSrdIncForRow=0 */
s_sleep 7 // optimization: sync and wait
s_barrier

/******************************************/
/* Global Write Alpha Beta Batch #29 (d1,d0,vc1,vc0) = */
/*    (7,1,0,0:vw1)                       */
/******************************************/

/* calc coords, apply mask, and issue loads (if necessary) */
/* (d1,vc1,d0,vc0)=(7,0,1,0) */
_v_add_co_u32 v6, vcc, v0, 16                      // coord0.1: coord0 += d0*sg0*VW + vc0
GLOBAL_OFFSET_C 12, 6, 1, sgprWorkGroup2, 8
v_mov_b32 v8, v12                                  // temp store offset 0
v_mov_b32 v9, v13                                  // temp store offset 1
_v_add_co_u32 v12, vcc, v4, v8                     // addrVgpr = C + index*bytes (lo)
_v_addc_co_u32 v13, vcc, v5, v9, vcc               // addrVgpr = C + index*bytes (hi)
_global_load_b64 v[14:15], v[12:13], off, offset:0,  sc0 sc1 // load C for beta calc
GLOBAL_OFFSET_D 12, 6, 1, sgprWorkGroup2, 8
v_mov_b32 v8, v12                                  // temp store offset 0
v_mov_b32 v9, v13                                  // temp store offset 1
_v_add_co_u32 v12, vcc, v2, v8                     // addrVgpr = D + index*bytes (lo)
_v_addc_co_u32 v13, vcc, v3, v9, vcc               // addrVgpr = D + index*bytes (hi)
s_sleep 7 // optimization: sync and wait
s_barrier
v_accvgpr_read_b32 v[vgprValuC+16], acc46 // copy acc to vreg[58]
v_accvgpr_read_b32 v[vgprValuC+17], acc47 // copy acc to vreg[59]
s_nop 1                                            // 2 wait states required before reading vgpr

/* rC *= alpha batchElements=[(7, 1, 0, 0)] */
v_mul_f64 v[vgprValuC+16:vgprValuC+16+1], s[sgprAlpha:sgprAlpha+1], v[vgprValuC+16:vgprValuC+16+1] // *= alpha
s_waitcnt vmcnt(0)                                 // wait C

/* apply mask, calc new C and issue writes */
v_fma_f64 v[vgprValuC+16:vgprValuC+16+1], v[14:15], s[sgprBeta:sgprBeta+1], v[vgprValuC+16:vgprValuC+16+1] // finalSum = sum*alpha + C*beta
_global_store_b64 v[12:13], v[16:17], off,  sc0 sc1 // store D
s_nop 0                                            // 1 wait state required when next inst writes vgprs held by previous dwordx4 store inst
/* optSingleColVgpr=0 optSharedColVgpr=0 optSGPRUsage=None optSrdIncForRow=0 */
s_sleep 7 // optimization: sync and wait
s_barrier

/******************************************/
/* Global Write Alpha Beta Batch #30 (d1,d0,vc1,vc0) = */
/*    (7,2,0,0:vw1)                       */
/******************************************/

/* calc coords, apply mask, and issue loads (if necessary) */
/* (d1,vc1,d0,vc0)=(7,0,2,0) */
_v_add_co_u32 v6, vcc, v0, 32                      // coord0.1: coord0 += d0*sg0*VW + vc0
GLOBAL_OFFSET_C 12, 6, 1, sgprWorkGroup2, 8
v_mov_b32 v8, v12                                  // temp store offset 0
v_mov_b32 v9, v13                                  // temp store offset 1
_v_add_co_u32 v12, vcc, v4, v8                     // addrVgpr = C + index*bytes (lo)
_v_addc_co_u32 v13, vcc, v5, v9, vcc               // addrVgpr = C + index*bytes (hi)
_global_load_b64 v[14:15], v[12:13], off, offset:0,  sc0 sc1 // load C for beta calc
GLOBAL_OFFSET_D 12, 6, 1, sgprWorkGroup2, 8
v_mov_b32 v8, v12                                  // temp store offset 0
v_mov_b32 v9, v13                                  // temp store offset 1
_v_add_co_u32 v12, vcc, v2, v8                     // addrVgpr = D + index*bytes (lo)
_v_addc_co_u32 v13, vcc, v3, v9, vcc               // addrVgpr = D + index*bytes (hi)
s_sleep 7 // optimization: sync and wait
s_barrier
v_accvgpr_read_b32 v[vgprValuC+16], acc54 // copy acc to vreg[60]
v_accvgpr_read_b32 v[vgprValuC+17], acc55 // copy acc to vreg[61]
s_nop 1                                            // 2 wait states required before reading vgpr

/* rC *= alpha batchElements=[(7, 2, 0, 0)] */
v_mul_f64 v[vgprValuC+16:vgprValuC+16+1], s[sgprAlpha:sgprAlpha+1], v[vgprValuC+16:vgprValuC+16+1] // *= alpha
s_waitcnt vmcnt(0)                                 // wait C

/* apply mask, calc new C and issue writes */
v_fma_f64 v[vgprValuC+16:vgprValuC+16+1], v[14:15], s[sgprBeta:sgprBeta+1], v[vgprValuC+16:vgprValuC+16+1] // finalSum = sum*alpha + C*beta
_global_store_b64 v[12:13], v[16:17], off,  sc0 sc1 // store D
s_nop 0                                            // 1 wait state required when next inst writes vgprs held by previous dwordx4 store inst
/* optSingleColVgpr=0 optSharedColVgpr=0 optSGPRUsage=None optSrdIncForRow=0 */
s_sleep 7 // optimization: sync and wait
s_barrier

/******************************************/
/* Global Write Alpha Beta Batch #31 (d1,d0,vc1,vc0) = */
/*    (7,3,0,0:vw1)                       */
/******************************************/

/* calc coords, apply mask, and issue loads (if necessary) */
/* (d1,vc1,d0,vc0)=(7,0,3,0) */
_v_add_co_u32 v6, vcc, v0, 48                      // coord0.1: coord0 += d0*sg0*VW + vc0
GLOBAL_OFFSET_C 12, 6, 1, sgprWorkGroup2, 8
v_mov_b32 v8, v12                                  // temp store offset 0
v_mov_b32 v9, v13                                  // temp store offset 1
_v_add_co_u32 v12, vcc, v4, v8                     // addrVgpr = C + index*bytes (lo)
_v_addc_co_u32 v13, vcc, v5, v9, vcc               // addrVgpr = C + index*bytes (hi)
_global_load_b64 v[14:15], v[12:13], off, offset:0,  sc0 sc1 // load C for beta calc
GLOBAL_OFFSET_D 12, 6, 1, sgprWorkGroup2, 8
v_mov_b32 v8, v12                                  // temp store offset 0
v_mov_b32 v9, v13                                  // temp store offset 1
_v_add_co_u32 v12, vcc, v2, v8                     // addrVgpr = D + index*bytes (lo)
_v_addc_co_u32 v13, vcc, v3, v9, vcc               // addrVgpr = D + index*bytes (hi)
s_sleep 7 // optimization: sync and wait
s_barrier
v_accvgpr_read_b32 v[vgprValuC+16], acc62 // copy acc to vreg[62]
v_accvgpr_read_b32 v[vgprValuC+17], acc63 // copy acc to vreg[63]
s_nop 1                                            // 2 wait states required before reading vgpr

/* rC *= alpha batchElements=[(7, 3, 0, 0)] */
v_mul_f64 v[vgprValuC+16:vgprValuC+16+1], s[sgprAlpha:sgprAlpha+1], v[vgprValuC+16:vgprValuC+16+1] // *= alpha
s_waitcnt vmcnt(0)                                 // wait C

/* apply mask, calc new C and issue writes */
v_fma_f64 v[vgprValuC+16:vgprValuC+16+1], v[14:15], s[sgprBeta:sgprBeta+1], v[vgprValuC+16:vgprValuC+16+1] // finalSum = sum*alpha + C*beta
_global_store_b64 v[12:13], v[16:17], off,  sc0 sc1 // store D
s_nop 0                                            // 1 wait state required when next inst writes vgprs held by previous dwordx4 store inst
s_branch label_GW_End_66                           // jump to end
GW_B1_E1_65:

/* edge=1, allocate 6 sgpr. perBatchTmpS=4 perBatchMaskS=0 perElementMaskS=2 elementsPerBatch=1 */
/* optSingleColVgpr=0 optSharedColVgpr=0 optSGPRUsage=None optSrdIncForRow=0 */
s_sleep 7 // optimization: sync and wait
s_barrier

/******************************************/
/* Global Write Alpha Beta Edge Batch #0 (d1,d0,vc1,vc0) = */
/*    (0,0,0,0:vw1)                       */
/******************************************/

/* calc coords, apply mask, and issue loads (if necessary) */
/* (d1,vc1,d0,vc0)=(0,0,0,0) */
GLOBAL_OFFSET_C 12, 0, 1, sgprWorkGroup2, 8
v_mov_b32 v8, v12                                  // temp store offset 0
v_mov_b32 v9, v13                                  // temp store offset 1
v_cmp_lt_u32 s[38:39], v0, s[sgprSizesFree+0]      // coord0 < size0
v_cmp_lt_u32 s[40:41], v1, s[sgprSizesFree+1]      // coord1 < size1
s_and_b64 s[42:43], s[38:39], s[40:41]             // in0 && in1
s_mov_b64 exec, s[42:43]                           // sgprs -> exec
_v_add_co_u32 v12, vcc, v4, v8                     // addrVgpr = C + index*bytes (lo)
_v_addc_co_u32 v13, vcc, v5, v9, vcc               // addrVgpr = C + index*bytes (hi)
_global_load_b64 v[14:15], v[12:13], off, offset:0,  sc0 sc1 // load C for beta calc
GLOBAL_OFFSET_D 12, 0, 1, sgprWorkGroup2, 8
v_mov_b32 v8, v12                                  // temp store offset 0
v_mov_b32 v9, v13                                  // temp store offset 1
v_cmp_lt_u32 s[38:39], v0, s[sgprSizesFree+0]      // coord0 < size0
v_cmp_lt_u32 s[40:41], v1, s[sgprSizesFree+1]      // coord1 < size1
s_and_b64 s[42:43], s[38:39], s[40:41]             // in0 && in1
s_mov_b64 exec, s[42:43]                           // sgprs -> exec
_v_add_co_u32 v12, vcc, v2, v8                     // addrVgpr = D + index*bytes (lo)
_v_addc_co_u32 v13, vcc, v3, v9, vcc               // addrVgpr = D + index*bytes (hi)
s_mov_b64 exec, -1                                 // full mask -1 -> exec
s_sleep 7 // optimization: sync and wait
s_barrier
v_accvgpr_read_b32 v[vgprValuC+16], acc0 // copy acc to vreg[0]
v_accvgpr_read_b32 v[vgprValuC+17], acc1 // copy acc to vreg[1]
s_nop 1                                            // 2 wait states required before reading vgpr

/* rC *= alpha batchElements=[(0, 0, 0, 0)] */
v_mul_f64 v[vgprValuC+16:vgprValuC+16+1], s[sgprAlpha:sgprAlpha+1], v[vgprValuC+16:vgprValuC+16+1] // *= alpha
s_waitcnt vmcnt(0)                                 // wait C

/* apply mask, calc new C and issue writes */
s_mov_b64 exec, s[42:43]                           // sgprs -> exec
v_fma_f64 v[vgprValuC+16:vgprValuC+16+1], v[14:15], s[sgprBeta:sgprBeta+1], v[vgprValuC+16:vgprValuC+16+1] // finalSum = sum*alpha + C*beta
_global_store_b64 v[12:13], v[16:17], off,  sc0 sc1 // store D
s_mov_b64 exec, -1                                 // full mask -> exec
s_nop 0                                            // 1 wait state required when next inst writes vgprs held by previous dwordx4 store inst
/* optSingleColVgpr=0 optSharedColVgpr=0 optSGPRUsage=None optSrdIncForRow=0 */
s_sleep 7 // optimization: sync and wait
s_barrier

/******************************************/
/* Global Write Alpha Beta Edge Batch #1 (d1,d0,vc1,vc0) = */
/*    (0,1,0,0:vw1)                       */
/******************************************/

/* calc coords, apply mask, and issue loads (if necessary) */
/* (d1,vc1,d0,vc0)=(0,0,1,0) */
_v_add_co_u32 v6, vcc, v0, 16                      // coord0.1: coord0 += d0*sg0*VW + vc0
GLOBAL_OFFSET_C 12, 6, 1, sgprWorkGroup2, 8
v_mov_b32 v8, v12                                  // temp store offset 0
v_mov_b32 v9, v13                                  // temp store offset 1
v_cmp_lt_u32 s[38:39], v6, s[sgprSizesFree+0]      // coord0 < size0
v_cmp_lt_u32 s[40:41], v1, s[sgprSizesFree+1]      // coord1 < size1
s_and_b64 s[42:43], s[38:39], s[40:41]             // in0 && in1
s_mov_b64 exec, s[42:43]                           // sgprs -> exec
_v_add_co_u32 v12, vcc, v4, v8                     // addrVgpr = C + index*bytes (lo)
_v_addc_co_u32 v13, vcc, v5, v9, vcc               // addrVgpr = C + index*bytes (hi)
_global_load_b64 v[14:15], v[12:13], off, offset:0,  sc0 sc1 // load C for beta calc
GLOBAL_OFFSET_D 12, 6, 1, sgprWorkGroup2, 8
v_mov_b32 v8, v12                                  // temp store offset 0
v_mov_b32 v9, v13                                  // temp store offset 1
v_cmp_lt_u32 s[38:39], v6, s[sgprSizesFree+0]      // coord0 < size0
v_cmp_lt_u32 s[40:41], v1, s[sgprSizesFree+1]      // coord1 < size1
s_and_b64 s[42:43], s[38:39], s[40:41]             // in0 && in1
s_mov_b64 exec, s[42:43]                           // sgprs -> exec
_v_add_co_u32 v12, vcc, v2, v8                     // addrVgpr = D + index*bytes (lo)
_v_addc_co_u32 v13, vcc, v3, v9, vcc               // addrVgpr = D + index*bytes (hi)
s_mov_b64 exec, -1                                 // full mask -1 -> exec
s_sleep 7 // optimization: sync and wait
s_barrier
v_accvgpr_read_b32 v[vgprValuC+16], acc8 // copy acc to vreg[2]
v_accvgpr_read_b32 v[vgprValuC+17], acc9 // copy acc to vreg[3]
s_nop 1                                            // 2 wait states required before reading vgpr

/* rC *= alpha batchElements=[(0, 1, 0, 0)] */
v_mul_f64 v[vgprValuC+16:vgprValuC+16+1], s[sgprAlpha:sgprAlpha+1], v[vgprValuC+16:vgprValuC+16+1] // *= alpha
s_waitcnt vmcnt(0)                                 // wait C

/* apply mask, calc new C and issue writes */
s_mov_b64 exec, s[42:43]                           // sgprs -> exec
v_fma_f64 v[vgprValuC+16:vgprValuC+16+1], v[14:15], s[sgprBeta:sgprBeta+1], v[vgprValuC+16:vgprValuC+16+1] // finalSum = sum*alpha + C*beta
_global_store_b64 v[12:13], v[16:17], off,  sc0 sc1 // store D
s_mov_b64 exec, -1                                 // full mask -> exec
s_nop 0                                            // 1 wait state required when next inst writes vgprs held by previous dwordx4 store inst
/* optSingleColVgpr=0 optSharedColVgpr=0 optSGPRUsage=None optSrdIncForRow=0 */
s_sleep 7 // optimization: sync and wait
s_barrier

/******************************************/
/* Global Write Alpha Beta Edge Batch #2 (d1,d0,vc1,vc0) = */
/*    (0,2,0,0:vw1)                       */
/******************************************/

/* calc coords, apply mask, and issue loads (if necessary) */
/* (d1,vc1,d0,vc0)=(0,0,2,0) */
_v_add_co_u32 v6, vcc, v0, 32                      // coord0.1: coord0 += d0*sg0*VW + vc0
GLOBAL_OFFSET_C 12, 6, 1, sgprWorkGroup2, 8
v_mov_b32 v8, v12                                  // temp store offset 0
v_mov_b32 v9, v13                                  // temp store offset 1
v_cmp_lt_u32 s[38:39], v6, s[sgprSizesFree+0]      // coord0 < size0
v_cmp_lt_u32 s[40:41], v1, s[sgprSizesFree+1]      // coord1 < size1
s_and_b64 s[42:43], s[38:39], s[40:41]             // in0 && in1
s_mov_b64 exec, s[42:43]                           // sgprs -> exec
_v_add_co_u32 v12, vcc, v4, v8                     // addrVgpr = C + index*bytes (lo)
_v_addc_co_u32 v13, vcc, v5, v9, vcc               // addrVgpr = C + index*bytes (hi)
_global_load_b64 v[14:15], v[12:13], off, offset:0,  sc0 sc1 // load C for beta calc
GLOBAL_OFFSET_D 12, 6, 1, sgprWorkGroup2, 8
v_mov_b32 v8, v12                                  // temp store offset 0
v_mov_b32 v9, v13                                  // temp store offset 1
v_cmp_lt_u32 s[38:39], v6, s[sgprSizesFree+0]      // coord0 < size0
v_cmp_lt_u32 s[40:41], v1, s[sgprSizesFree+1]      // coord1 < size1
s_and_b64 s[42:43], s[38:39], s[40:41]             // in0 && in1
s_mov_b64 exec, s[42:43]                           // sgprs -> exec
_v_add_co_u32 v12, vcc, v2, v8                     // addrVgpr = D + index*bytes (lo)
_v_addc_co_u32 v13, vcc, v3, v9, vcc               // addrVgpr = D + index*bytes (hi)
s_mov_b64 exec, -1                                 // full mask -1 -> exec
s_sleep 7 // optimization: sync and wait
s_barrier
v_accvgpr_read_b32 v[vgprValuC+16], acc16 // copy acc to vreg[4]
v_accvgpr_read_b32 v[vgprValuC+17], acc17 // copy acc to vreg[5]
s_nop 1                                            // 2 wait states required before reading vgpr

/* rC *= alpha batchElements=[(0, 2, 0, 0)] */
v_mul_f64 v[vgprValuC+16:vgprValuC+16+1], s[sgprAlpha:sgprAlpha+1], v[vgprValuC+16:vgprValuC+16+1] // *= alpha
s_waitcnt vmcnt(0)                                 // wait C

/* apply mask, calc new C and issue writes */
s_mov_b64 exec, s[42:43]                           // sgprs -> exec
v_fma_f64 v[vgprValuC+16:vgprValuC+16+1], v[14:15], s[sgprBeta:sgprBeta+1], v[vgprValuC+16:vgprValuC+16+1] // finalSum = sum*alpha + C*beta
_global_store_b64 v[12:13], v[16:17], off,  sc0 sc1 // store D
s_mov_b64 exec, -1                                 // full mask -> exec
s_nop 0                                            // 1 wait state required when next inst writes vgprs held by previous dwordx4 store inst
/* optSingleColVgpr=0 optSharedColVgpr=0 optSGPRUsage=None optSrdIncForRow=0 */
s_sleep 7 // optimization: sync and wait
s_barrier

/******************************************/
/* Global Write Alpha Beta Edge Batch #3 (d1,d0,vc1,vc0) = */
/*    (0,3,0,0:vw1)                       */
/******************************************/

/* calc coords, apply mask, and issue loads (if necessary) */
/* (d1,vc1,d0,vc0)=(0,0,3,0) */
_v_add_co_u32 v6, vcc, v0, 48                      // coord0.1: coord0 += d0*sg0*VW + vc0
GLOBAL_OFFSET_C 12, 6, 1, sgprWorkGroup2, 8
v_mov_b32 v8, v12                                  // temp store offset 0
v_mov_b32 v9, v13                                  // temp store offset 1
v_cmp_lt_u32 s[38:39], v6, s[sgprSizesFree+0]      // coord0 < size0
v_cmp_lt_u32 s[40:41], v1, s[sgprSizesFree+1]      // coord1 < size1
s_and_b64 s[42:43], s[38:39], s[40:41]             // in0 && in1
s_mov_b64 exec, s[42:43]                           // sgprs -> exec
_v_add_co_u32 v12, vcc, v4, v8                     // addrVgpr = C + index*bytes (lo)
_v_addc_co_u32 v13, vcc, v5, v9, vcc               // addrVgpr = C + index*bytes (hi)
_global_load_b64 v[14:15], v[12:13], off, offset:0,  sc0 sc1 // load C for beta calc
GLOBAL_OFFSET_D 12, 6, 1, sgprWorkGroup2, 8
v_mov_b32 v8, v12                                  // temp store offset 0
v_mov_b32 v9, v13                                  // temp store offset 1
v_cmp_lt_u32 s[38:39], v6, s[sgprSizesFree+0]      // coord0 < size0
v_cmp_lt_u32 s[40:41], v1, s[sgprSizesFree+1]      // coord1 < size1
s_and_b64 s[42:43], s[38:39], s[40:41]             // in0 && in1
s_mov_b64 exec, s[42:43]                           // sgprs -> exec
_v_add_co_u32 v12, vcc, v2, v8                     // addrVgpr = D + index*bytes (lo)
_v_addc_co_u32 v13, vcc, v3, v9, vcc               // addrVgpr = D + index*bytes (hi)
s_mov_b64 exec, -1                                 // full mask -1 -> exec
s_sleep 7 // optimization: sync and wait
s_barrier
v_accvgpr_read_b32 v[vgprValuC+16], acc24 // copy acc to vreg[6]
v_accvgpr_read_b32 v[vgprValuC+17], acc25 // copy acc to vreg[7]
s_nop 1                                            // 2 wait states required before reading vgpr

/* rC *= alpha batchElements=[(0, 3, 0, 0)] */
v_mul_f64 v[vgprValuC+16:vgprValuC+16+1], s[sgprAlpha:sgprAlpha+1], v[vgprValuC+16:vgprValuC+16+1] // *= alpha
s_waitcnt vmcnt(0)                                 // wait C

/* apply mask, calc new C and issue writes */
s_mov_b64 exec, s[42:43]                           // sgprs -> exec
v_fma_f64 v[vgprValuC+16:vgprValuC+16+1], v[14:15], s[sgprBeta:sgprBeta+1], v[vgprValuC+16:vgprValuC+16+1] // finalSum = sum*alpha + C*beta
_global_store_b64 v[12:13], v[16:17], off,  sc0 sc1 // store D
s_mov_b64 exec, -1                                 // full mask -> exec
s_nop 0                                            // 1 wait state required when next inst writes vgprs held by previous dwordx4 store inst
/* optSingleColVgpr=0 optSharedColVgpr=0 optSGPRUsage=None optSrdIncForRow=0 */
s_sleep 7 // optimization: sync and wait
s_barrier

/******************************************/
/* Global Write Alpha Beta Edge Batch #4 (d1,d0,vc1,vc0) = */
/*    (1,0,0,0:vw1)                       */
/******************************************/

/* calc coords, apply mask, and issue loads (if necessary) */
/* (d1,vc1,d0,vc0)=(1,0,0,0) */
_v_add_co_u32 v1, vcc, v1, 4                       // coord1.1: coord1Vgpr += d1*sg1*VW + vc1
GLOBAL_OFFSET_C 12, 0, 1, sgprWorkGroup2, 8
v_mov_b32 v8, v12                                  // temp store offset 0
v_mov_b32 v9, v13                                  // temp store offset 1
v_cmp_lt_u32 s[38:39], v0, s[sgprSizesFree+0]      // coord0 < size0
v_cmp_lt_u32 s[40:41], v1, s[sgprSizesFree+1]      // coord1 < size1
s_and_b64 s[42:43], s[38:39], s[40:41]             // in0 && in1
s_mov_b64 exec, s[42:43]                           // sgprs -> exec
_v_add_co_u32 v12, vcc, v4, v8                     // addrVgpr = C + index*bytes (lo)
_v_addc_co_u32 v13, vcc, v5, v9, vcc               // addrVgpr = C + index*bytes (hi)
_global_load_b64 v[14:15], v[12:13], off, offset:0,  sc0 sc1 // load C for beta calc
GLOBAL_OFFSET_D 12, 0, 1, sgprWorkGroup2, 8
v_mov_b32 v8, v12                                  // temp store offset 0
v_mov_b32 v9, v13                                  // temp store offset 1
v_cmp_lt_u32 s[38:39], v0, s[sgprSizesFree+0]      // coord0 < size0
v_cmp_lt_u32 s[40:41], v1, s[sgprSizesFree+1]      // coord1 < size1
s_and_b64 s[42:43], s[38:39], s[40:41]             // in0 && in1
s_mov_b64 exec, s[42:43]                           // sgprs -> exec
_v_add_co_u32 v12, vcc, v2, v8                     // addrVgpr = D + index*bytes (lo)
_v_addc_co_u32 v13, vcc, v3, v9, vcc               // addrVgpr = D + index*bytes (hi)
s_mov_b64 exec, -1                                 // full mask -1 -> exec
s_sleep 7 // optimization: sync and wait
s_barrier
v_accvgpr_read_b32 v[vgprValuC+16], acc2 // copy acc to vreg[8]
v_accvgpr_read_b32 v[vgprValuC+17], acc3 // copy acc to vreg[9]
s_nop 1                                            // 2 wait states required before reading vgpr

/* rC *= alpha batchElements=[(1, 0, 0, 0)] */
v_mul_f64 v[vgprValuC+16:vgprValuC+16+1], s[sgprAlpha:sgprAlpha+1], v[vgprValuC+16:vgprValuC+16+1] // *= alpha
s_waitcnt vmcnt(0)                                 // wait C

/* apply mask, calc new C and issue writes */
s_mov_b64 exec, s[42:43]                           // sgprs -> exec
v_fma_f64 v[vgprValuC+16:vgprValuC+16+1], v[14:15], s[sgprBeta:sgprBeta+1], v[vgprValuC+16:vgprValuC+16+1] // finalSum = sum*alpha + C*beta
_global_store_b64 v[12:13], v[16:17], off,  sc0 sc1 // store D
s_mov_b64 exec, -1                                 // full mask -> exec
s_nop 0                                            // 1 wait state required when next inst writes vgprs held by previous dwordx4 store inst
/* optSingleColVgpr=0 optSharedColVgpr=0 optSGPRUsage=None optSrdIncForRow=0 */
s_sleep 7 // optimization: sync and wait
s_barrier

/******************************************/
/* Global Write Alpha Beta Edge Batch #5 (d1,d0,vc1,vc0) = */
/*    (1,1,0,0:vw1)                       */
/******************************************/

/* calc coords, apply mask, and issue loads (if necessary) */
/* (d1,vc1,d0,vc0)=(1,0,1,0) */
_v_add_co_u32 v6, vcc, v0, 16                      // coord0.1: coord0 += d0*sg0*VW + vc0
GLOBAL_OFFSET_C 12, 6, 1, sgprWorkGroup2, 8
v_mov_b32 v8, v12                                  // temp store offset 0
v_mov_b32 v9, v13                                  // temp store offset 1
v_cmp_lt_u32 s[38:39], v6, s[sgprSizesFree+0]      // coord0 < size0
v_cmp_lt_u32 s[40:41], v1, s[sgprSizesFree+1]      // coord1 < size1
s_and_b64 s[42:43], s[38:39], s[40:41]             // in0 && in1
s_mov_b64 exec, s[42:43]                           // sgprs -> exec
_v_add_co_u32 v12, vcc, v4, v8                     // addrVgpr = C + index*bytes (lo)
_v_addc_co_u32 v13, vcc, v5, v9, vcc               // addrVgpr = C + index*bytes (hi)
_global_load_b64 v[14:15], v[12:13], off, offset:0,  sc0 sc1 // load C for beta calc
GLOBAL_OFFSET_D 12, 6, 1, sgprWorkGroup2, 8
v_mov_b32 v8, v12                                  // temp store offset 0
v_mov_b32 v9, v13                                  // temp store offset 1
v_cmp_lt_u32 s[38:39], v6, s[sgprSizesFree+0]      // coord0 < size0
v_cmp_lt_u32 s[40:41], v1, s[sgprSizesFree+1]      // coord1 < size1
s_and_b64 s[42:43], s[38:39], s[40:41]             // in0 && in1
s_mov_b64 exec, s[42:43]                           // sgprs -> exec
_v_add_co_u32 v12, vcc, v2, v8                     // addrVgpr = D + index*bytes (lo)
_v_addc_co_u32 v13, vcc, v3, v9, vcc               // addrVgpr = D + index*bytes (hi)
s_mov_b64 exec, -1                                 // full mask -1 -> exec
s_sleep 7 // optimization: sync and wait
s_barrier
v_accvgpr_read_b32 v[vgprValuC+16], acc10 // copy acc to vreg[10]
v_accvgpr_read_b32 v[vgprValuC+17], acc11 // copy acc to vreg[11]
s_nop 1                                            // 2 wait states required before reading vgpr

/* rC *= alpha batchElements=[(1, 1, 0, 0)] */
v_mul_f64 v[vgprValuC+16:vgprValuC+16+1], s[sgprAlpha:sgprAlpha+1], v[vgprValuC+16:vgprValuC+16+1] // *= alpha
s_waitcnt vmcnt(0)                                 // wait C

/* apply mask, calc new C and issue writes */
s_mov_b64 exec, s[42:43]                           // sgprs -> exec
v_fma_f64 v[vgprValuC+16:vgprValuC+16+1], v[14:15], s[sgprBeta:sgprBeta+1], v[vgprValuC+16:vgprValuC+16+1] // finalSum = sum*alpha + C*beta
_global_store_b64 v[12:13], v[16:17], off,  sc0 sc1 // store D
s_mov_b64 exec, -1                                 // full mask -> exec
s_nop 0                                            // 1 wait state required when next inst writes vgprs held by previous dwordx4 store inst
/* optSingleColVgpr=0 optSharedColVgpr=0 optSGPRUsage=None optSrdIncForRow=0 */
s_sleep 7 // optimization: sync and wait
s_barrier

/******************************************/
/* Global Write Alpha Beta Edge Batch #6 (d1,d0,vc1,vc0) = */
/*    (1,2,0,0:vw1)                       */
/******************************************/

/* calc coords, apply mask, and issue loads (if necessary) */
/* (d1,vc1,d0,vc0)=(1,0,2,0) */
_v_add_co_u32 v6, vcc, v0, 32                      // coord0.1: coord0 += d0*sg0*VW + vc0
GLOBAL_OFFSET_C 12, 6, 1, sgprWorkGroup2, 8
v_mov_b32 v8, v12                                  // temp store offset 0
v_mov_b32 v9, v13                                  // temp store offset 1
v_cmp_lt_u32 s[38:39], v6, s[sgprSizesFree+0]      // coord0 < size0
v_cmp_lt_u32 s[40:41], v1, s[sgprSizesFree+1]      // coord1 < size1
s_and_b64 s[42:43], s[38:39], s[40:41]             // in0 && in1
s_mov_b64 exec, s[42:43]                           // sgprs -> exec
_v_add_co_u32 v12, vcc, v4, v8                     // addrVgpr = C + index*bytes (lo)
_v_addc_co_u32 v13, vcc, v5, v9, vcc               // addrVgpr = C + index*bytes (hi)
_global_load_b64 v[14:15], v[12:13], off, offset:0,  sc0 sc1 // load C for beta calc
GLOBAL_OFFSET_D 12, 6, 1, sgprWorkGroup2, 8
v_mov_b32 v8, v12                                  // temp store offset 0
v_mov_b32 v9, v13                                  // temp store offset 1
v_cmp_lt_u32 s[38:39], v6, s[sgprSizesFree+0]      // coord0 < size0
v_cmp_lt_u32 s[40:41], v1, s[sgprSizesFree+1]      // coord1 < size1
s_and_b64 s[42:43], s[38:39], s[40:41]             // in0 && in1
s_mov_b64 exec, s[42:43]                           // sgprs -> exec
_v_add_co_u32 v12, vcc, v2, v8                     // addrVgpr = D + index*bytes (lo)
_v_addc_co_u32 v13, vcc, v3, v9, vcc               // addrVgpr = D + index*bytes (hi)
s_mov_b64 exec, -1                                 // full mask -1 -> exec
s_sleep 7 // optimization: sync and wait
s_barrier
v_accvgpr_read_b32 v[vgprValuC+16], acc18 // copy acc to vreg[12]
v_accvgpr_read_b32 v[vgprValuC+17], acc19 // copy acc to vreg[13]
s_nop 1                                            // 2 wait states required before reading vgpr

/* rC *= alpha batchElements=[(1, 2, 0, 0)] */
v_mul_f64 v[vgprValuC+16:vgprValuC+16+1], s[sgprAlpha:sgprAlpha+1], v[vgprValuC+16:vgprValuC+16+1] // *= alpha
s_waitcnt vmcnt(0)                                 // wait C

/* apply mask, calc new C and issue writes */
s_mov_b64 exec, s[42:43]                           // sgprs -> exec
v_fma_f64 v[vgprValuC+16:vgprValuC+16+1], v[14:15], s[sgprBeta:sgprBeta+1], v[vgprValuC+16:vgprValuC+16+1] // finalSum = sum*alpha + C*beta
_global_store_b64 v[12:13], v[16:17], off,  sc0 sc1 // store D
s_mov_b64 exec, -1                                 // full mask -> exec
s_nop 0                                            // 1 wait state required when next inst writes vgprs held by previous dwordx4 store inst
/* optSingleColVgpr=0 optSharedColVgpr=0 optSGPRUsage=None optSrdIncForRow=0 */
s_sleep 7 // optimization: sync and wait
s_barrier

/******************************************/
/* Global Write Alpha Beta Edge Batch #7 (d1,d0,vc1,vc0) = */
/*    (1,3,0,0:vw1)                       */
/******************************************/

/* calc coords, apply mask, and issue loads (if necessary) */
/* (d1,vc1,d0,vc0)=(1,0,3,0) */
_v_add_co_u32 v6, vcc, v0, 48                      // coord0.1: coord0 += d0*sg0*VW + vc0
GLOBAL_OFFSET_C 12, 6, 1, sgprWorkGroup2, 8
v_mov_b32 v8, v12                                  // temp store offset 0
v_mov_b32 v9, v13                                  // temp store offset 1
v_cmp_lt_u32 s[38:39], v6, s[sgprSizesFree+0]      // coord0 < size0
v_cmp_lt_u32 s[40:41], v1, s[sgprSizesFree+1]      // coord1 < size1
s_and_b64 s[42:43], s[38:39], s[40:41]             // in0 && in1
s_mov_b64 exec, s[42:43]                           // sgprs -> exec
_v_add_co_u32 v12, vcc, v4, v8                     // addrVgpr = C + index*bytes (lo)
_v_addc_co_u32 v13, vcc, v5, v9, vcc               // addrVgpr = C + index*bytes (hi)
_global_load_b64 v[14:15], v[12:13], off, offset:0,  sc0 sc1 // load C for beta calc
GLOBAL_OFFSET_D 12, 6, 1, sgprWorkGroup2, 8
v_mov_b32 v8, v12                                  // temp store offset 0
v_mov_b32 v9, v13                                  // temp store offset 1
v_cmp_lt_u32 s[38:39], v6, s[sgprSizesFree+0]      // coord0 < size0
v_cmp_lt_u32 s[40:41], v1, s[sgprSizesFree+1]      // coord1 < size1
s_and_b64 s[42:43], s[38:39], s[40:41]             // in0 && in1
s_mov_b64 exec, s[42:43]                           // sgprs -> exec
_v_add_co_u32 v12, vcc, v2, v8                     // addrVgpr = D + index*bytes (lo)
_v_addc_co_u32 v13, vcc, v3, v9, vcc               // addrVgpr = D + index*bytes (hi)
s_mov_b64 exec, -1                                 // full mask -1 -> exec
s_sleep 7 // optimization: sync and wait
s_barrier
v_accvgpr_read_b32 v[vgprValuC+16], acc26 // copy acc to vreg[14]
v_accvgpr_read_b32 v[vgprValuC+17], acc27 // copy acc to vreg[15]
s_nop 1                                            // 2 wait states required before reading vgpr

/* rC *= alpha batchElements=[(1, 3, 0, 0)] */
v_mul_f64 v[vgprValuC+16:vgprValuC+16+1], s[sgprAlpha:sgprAlpha+1], v[vgprValuC+16:vgprValuC+16+1] // *= alpha
s_waitcnt vmcnt(0)                                 // wait C

/* apply mask, calc new C and issue writes */
s_mov_b64 exec, s[42:43]                           // sgprs -> exec
v_fma_f64 v[vgprValuC+16:vgprValuC+16+1], v[14:15], s[sgprBeta:sgprBeta+1], v[vgprValuC+16:vgprValuC+16+1] // finalSum = sum*alpha + C*beta
_global_store_b64 v[12:13], v[16:17], off,  sc0 sc1 // store D
s_mov_b64 exec, -1                                 // full mask -> exec
s_nop 0                                            // 1 wait state required when next inst writes vgprs held by previous dwordx4 store inst
/* optSingleColVgpr=0 optSharedColVgpr=0 optSGPRUsage=None optSrdIncForRow=0 */
s_sleep 7 // optimization: sync and wait
s_barrier

/******************************************/
/* Global Write Alpha Beta Edge Batch #8 (d1,d0,vc1,vc0) = */
/*    (2,0,0,0:vw1)                       */
/******************************************/

/* calc coords, apply mask, and issue loads (if necessary) */
/* (d1,vc1,d0,vc0)=(2,0,0,0) */
_v_add_co_u32 v1, vcc, v1, 4                       // coord1.1: coord1Vgpr += d1*sg1*VW + vc1
GLOBAL_OFFSET_C 12, 0, 1, sgprWorkGroup2, 8
v_mov_b32 v8, v12                                  // temp store offset 0
v_mov_b32 v9, v13                                  // temp store offset 1
v_cmp_lt_u32 s[38:39], v0, s[sgprSizesFree+0]      // coord0 < size0
v_cmp_lt_u32 s[40:41], v1, s[sgprSizesFree+1]      // coord1 < size1
s_and_b64 s[42:43], s[38:39], s[40:41]             // in0 && in1
s_mov_b64 exec, s[42:43]                           // sgprs -> exec
_v_add_co_u32 v12, vcc, v4, v8                     // addrVgpr = C + index*bytes (lo)
_v_addc_co_u32 v13, vcc, v5, v9, vcc               // addrVgpr = C + index*bytes (hi)
_global_load_b64 v[14:15], v[12:13], off, offset:0,  sc0 sc1 // load C for beta calc
GLOBAL_OFFSET_D 12, 0, 1, sgprWorkGroup2, 8
v_mov_b32 v8, v12                                  // temp store offset 0
v_mov_b32 v9, v13                                  // temp store offset 1
v_cmp_lt_u32 s[38:39], v0, s[sgprSizesFree+0]      // coord0 < size0
v_cmp_lt_u32 s[40:41], v1, s[sgprSizesFree+1]      // coord1 < size1
s_and_b64 s[42:43], s[38:39], s[40:41]             // in0 && in1
s_mov_b64 exec, s[42:43]                           // sgprs -> exec
_v_add_co_u32 v12, vcc, v2, v8                     // addrVgpr = D + index*bytes (lo)
_v_addc_co_u32 v13, vcc, v3, v9, vcc               // addrVgpr = D + index*bytes (hi)
s_mov_b64 exec, -1                                 // full mask -1 -> exec
s_sleep 7 // optimization: sync and wait
s_barrier
v_accvgpr_read_b32 v[vgprValuC+16], acc4 // copy acc to vreg[16]
v_accvgpr_read_b32 v[vgprValuC+17], acc5 // copy acc to vreg[17]
s_nop 1                                            // 2 wait states required before reading vgpr

/* rC *= alpha batchElements=[(2, 0, 0, 0)] */
v_mul_f64 v[vgprValuC+16:vgprValuC+16+1], s[sgprAlpha:sgprAlpha+1], v[vgprValuC+16:vgprValuC+16+1] // *= alpha
s_waitcnt vmcnt(0)                                 // wait C

/* apply mask, calc new C and issue writes */
s_mov_b64 exec, s[42:43]                           // sgprs -> exec
v_fma_f64 v[vgprValuC+16:vgprValuC+16+1], v[14:15], s[sgprBeta:sgprBeta+1], v[vgprValuC+16:vgprValuC+16+1] // finalSum = sum*alpha + C*beta
_global_store_b64 v[12:13], v[16:17], off,  sc0 sc1 // store D
s_mov_b64 exec, -1                                 // full mask -> exec
s_nop 0                                            // 1 wait state required when next inst writes vgprs held by previous dwordx4 store inst
/* optSingleColVgpr=0 optSharedColVgpr=0 optSGPRUsage=None optSrdIncForRow=0 */
s_sleep 7 // optimization: sync and wait
s_barrier

/******************************************/
/* Global Write Alpha Beta Edge Batch #9 (d1,d0,vc1,vc0) = */
/*    (2,1,0,0:vw1)                       */
/******************************************/

/* calc coords, apply mask, and issue loads (if necessary) */
/* (d1,vc1,d0,vc0)=(2,0,1,0) */
_v_add_co_u32 v6, vcc, v0, 16                      // coord0.1: coord0 += d0*sg0*VW + vc0
GLOBAL_OFFSET_C 12, 6, 1, sgprWorkGroup2, 8
v_mov_b32 v8, v12                                  // temp store offset 0
v_mov_b32 v9, v13                                  // temp store offset 1
v_cmp_lt_u32 s[38:39], v6, s[sgprSizesFree+0]      // coord0 < size0
v_cmp_lt_u32 s[40:41], v1, s[sgprSizesFree+1]      // coord1 < size1
s_and_b64 s[42:43], s[38:39], s[40:41]             // in0 && in1
s_mov_b64 exec, s[42:43]                           // sgprs -> exec
_v_add_co_u32 v12, vcc, v4, v8                     // addrVgpr = C + index*bytes (lo)
_v_addc_co_u32 v13, vcc, v5, v9, vcc               // addrVgpr = C + index*bytes (hi)
_global_load_b64 v[14:15], v[12:13], off, offset:0,  sc0 sc1 // load C for beta calc
GLOBAL_OFFSET_D 12, 6, 1, sgprWorkGroup2, 8
v_mov_b32 v8, v12                                  // temp store offset 0
v_mov_b32 v9, v13                                  // temp store offset 1
v_cmp_lt_u32 s[38:39], v6, s[sgprSizesFree+0]      // coord0 < size0
v_cmp_lt_u32 s[40:41], v1, s[sgprSizesFree+1]      // coord1 < size1
s_and_b64 s[42:43], s[38:39], s[40:41]             // in0 && in1
s_mov_b64 exec, s[42:43]                           // sgprs -> exec
_v_add_co_u32 v12, vcc, v2, v8                     // addrVgpr = D + index*bytes (lo)
_v_addc_co_u32 v13, vcc, v3, v9, vcc               // addrVgpr = D + index*bytes (hi)
s_mov_b64 exec, -1                                 // full mask -1 -> exec
s_sleep 7 // optimization: sync and wait
s_barrier
v_accvgpr_read_b32 v[vgprValuC+16], acc12 // copy acc to vreg[18]
v_accvgpr_read_b32 v[vgprValuC+17], acc13 // copy acc to vreg[19]
s_nop 1                                            // 2 wait states required before reading vgpr

/* rC *= alpha batchElements=[(2, 1, 0, 0)] */
v_mul_f64 v[vgprValuC+16:vgprValuC+16+1], s[sgprAlpha:sgprAlpha+1], v[vgprValuC+16:vgprValuC+16+1] // *= alpha
s_waitcnt vmcnt(0)                                 // wait C

/* apply mask, calc new C and issue writes */
s_mov_b64 exec, s[42:43]                           // sgprs -> exec
v_fma_f64 v[vgprValuC+16:vgprValuC+16+1], v[14:15], s[sgprBeta:sgprBeta+1], v[vgprValuC+16:vgprValuC+16+1] // finalSum = sum*alpha + C*beta
_global_store_b64 v[12:13], v[16:17], off,  sc0 sc1 // store D
s_mov_b64 exec, -1                                 // full mask -> exec
s_nop 0                                            // 1 wait state required when next inst writes vgprs held by previous dwordx4 store inst
/* optSingleColVgpr=0 optSharedColVgpr=0 optSGPRUsage=None optSrdIncForRow=0 */
s_sleep 7 // optimization: sync and wait
s_barrier

/******************************************/
/* Global Write Alpha Beta Edge Batch #10 (d1,d0,vc1,vc0) = */
/*    (2,2,0,0:vw1)                       */
/******************************************/

/* calc coords, apply mask, and issue loads (if necessary) */
/* (d1,vc1,d0,vc0)=(2,0,2,0) */
_v_add_co_u32 v6, vcc, v0, 32                      // coord0.1: coord0 += d0*sg0*VW + vc0
GLOBAL_OFFSET_C 12, 6, 1, sgprWorkGroup2, 8
v_mov_b32 v8, v12                                  // temp store offset 0
v_mov_b32 v9, v13                                  // temp store offset 1
v_cmp_lt_u32 s[38:39], v6, s[sgprSizesFree+0]      // coord0 < size0
v_cmp_lt_u32 s[40:41], v1, s[sgprSizesFree+1]      // coord1 < size1
s_and_b64 s[42:43], s[38:39], s[40:41]             // in0 && in1
s_mov_b64 exec, s[42:43]                           // sgprs -> exec
_v_add_co_u32 v12, vcc, v4, v8                     // addrVgpr = C + index*bytes (lo)
_v_addc_co_u32 v13, vcc, v5, v9, vcc               // addrVgpr = C + index*bytes (hi)
_global_load_b64 v[14:15], v[12:13], off, offset:0,  sc0 sc1 // load C for beta calc
GLOBAL_OFFSET_D 12, 6, 1, sgprWorkGroup2, 8
v_mov_b32 v8, v12                                  // temp store offset 0
v_mov_b32 v9, v13                                  // temp store offset 1
v_cmp_lt_u32 s[38:39], v6, s[sgprSizesFree+0]      // coord0 < size0
v_cmp_lt_u32 s[40:41], v1, s[sgprSizesFree+1]      // coord1 < size1
s_and_b64 s[42:43], s[38:39], s[40:41]             // in0 && in1
s_mov_b64 exec, s[42:43]                           // sgprs -> exec
_v_add_co_u32 v12, vcc, v2, v8                     // addrVgpr = D + index*bytes (lo)
_v_addc_co_u32 v13, vcc, v3, v9, vcc               // addrVgpr = D + index*bytes (hi)
s_mov_b64 exec, -1                                 // full mask -1 -> exec
s_sleep 7 // optimization: sync and wait
s_barrier
v_accvgpr_read_b32 v[vgprValuC+16], acc20 // copy acc to vreg[20]
v_accvgpr_read_b32 v[vgprValuC+17], acc21 // copy acc to vreg[21]
s_nop 1                                            // 2 wait states required before reading vgpr

/* rC *= alpha batchElements=[(2, 2, 0, 0)] */
v_mul_f64 v[vgprValuC+16:vgprValuC+16+1], s[sgprAlpha:sgprAlpha+1], v[vgprValuC+16:vgprValuC+16+1] // *= alpha
s_waitcnt vmcnt(0)                                 // wait C

/* apply mask, calc new C and issue writes */
s_mov_b64 exec, s[42:43]                           // sgprs -> exec
v_fma_f64 v[vgprValuC+16:vgprValuC+16+1], v[14:15], s[sgprBeta:sgprBeta+1], v[vgprValuC+16:vgprValuC+16+1] // finalSum = sum*alpha + C*beta
_global_store_b64 v[12:13], v[16:17], off,  sc0 sc1 // store D
s_mov_b64 exec, -1                                 // full mask -> exec
s_nop 0                                            // 1 wait state required when next inst writes vgprs held by previous dwordx4 store inst
/* optSingleColVgpr=0 optSharedColVgpr=0 optSGPRUsage=None optSrdIncForRow=0 */
s_sleep 7 // optimization: sync and wait
s_barrier

/******************************************/
/* Global Write Alpha Beta Edge Batch #11 (d1,d0,vc1,vc0) = */
/*    (2,3,0,0:vw1)                       */
/******************************************/

/* calc coords, apply mask, and issue loads (if necessary) */
/* (d1,vc1,d0,vc0)=(2,0,3,0) */
_v_add_co_u32 v6, vcc, v0, 48                      // coord0.1: coord0 += d0*sg0*VW + vc0
GLOBAL_OFFSET_C 12, 6, 1, sgprWorkGroup2, 8
v_mov_b32 v8, v12                                  // temp store offset 0
v_mov_b32 v9, v13                                  // temp store offset 1
v_cmp_lt_u32 s[38:39], v6, s[sgprSizesFree+0]      // coord0 < size0
v_cmp_lt_u32 s[40:41], v1, s[sgprSizesFree+1]      // coord1 < size1
s_and_b64 s[42:43], s[38:39], s[40:41]             // in0 && in1
s_mov_b64 exec, s[42:43]                           // sgprs -> exec
_v_add_co_u32 v12, vcc, v4, v8                     // addrVgpr = C + index*bytes (lo)
_v_addc_co_u32 v13, vcc, v5, v9, vcc               // addrVgpr = C + index*bytes (hi)
_global_load_b64 v[14:15], v[12:13], off, offset:0,  sc0 sc1 // load C for beta calc
GLOBAL_OFFSET_D 12, 6, 1, sgprWorkGroup2, 8
v_mov_b32 v8, v12                                  // temp store offset 0
v_mov_b32 v9, v13                                  // temp store offset 1
v_cmp_lt_u32 s[38:39], v6, s[sgprSizesFree+0]      // coord0 < size0
v_cmp_lt_u32 s[40:41], v1, s[sgprSizesFree+1]      // coord1 < size1
s_and_b64 s[42:43], s[38:39], s[40:41]             // in0 && in1
s_mov_b64 exec, s[42:43]                           // sgprs -> exec
_v_add_co_u32 v12, vcc, v2, v8                     // addrVgpr = D + index*bytes (lo)
_v_addc_co_u32 v13, vcc, v3, v9, vcc               // addrVgpr = D + index*bytes (hi)
s_mov_b64 exec, -1                                 // full mask -1 -> exec
s_sleep 7 // optimization: sync and wait
s_barrier
v_accvgpr_read_b32 v[vgprValuC+16], acc28 // copy acc to vreg[22]
v_accvgpr_read_b32 v[vgprValuC+17], acc29 // copy acc to vreg[23]
s_nop 1                                            // 2 wait states required before reading vgpr

/* rC *= alpha batchElements=[(2, 3, 0, 0)] */
v_mul_f64 v[vgprValuC+16:vgprValuC+16+1], s[sgprAlpha:sgprAlpha+1], v[vgprValuC+16:vgprValuC+16+1] // *= alpha
s_waitcnt vmcnt(0)                                 // wait C

/* apply mask, calc new C and issue writes */
s_mov_b64 exec, s[42:43]                           // sgprs -> exec
v_fma_f64 v[vgprValuC+16:vgprValuC+16+1], v[14:15], s[sgprBeta:sgprBeta+1], v[vgprValuC+16:vgprValuC+16+1] // finalSum = sum*alpha + C*beta
_global_store_b64 v[12:13], v[16:17], off,  sc0 sc1 // store D
s_mov_b64 exec, -1                                 // full mask -> exec
s_nop 0                                            // 1 wait state required when next inst writes vgprs held by previous dwordx4 store inst
/* optSingleColVgpr=0 optSharedColVgpr=0 optSGPRUsage=None optSrdIncForRow=0 */
s_sleep 7 // optimization: sync and wait
s_barrier

/******************************************/
/* Global Write Alpha Beta Edge Batch #12 (d1,d0,vc1,vc0) = */
/*    (3,0,0,0:vw1)                       */
/******************************************/

/* calc coords, apply mask, and issue loads (if necessary) */
/* (d1,vc1,d0,vc0)=(3,0,0,0) */
_v_add_co_u32 v1, vcc, v1, 4                       // coord1.1: coord1Vgpr += d1*sg1*VW + vc1
GLOBAL_OFFSET_C 12, 0, 1, sgprWorkGroup2, 8
v_mov_b32 v8, v12                                  // temp store offset 0
v_mov_b32 v9, v13                                  // temp store offset 1
v_cmp_lt_u32 s[38:39], v0, s[sgprSizesFree+0]      // coord0 < size0
v_cmp_lt_u32 s[40:41], v1, s[sgprSizesFree+1]      // coord1 < size1
s_and_b64 s[42:43], s[38:39], s[40:41]             // in0 && in1
s_mov_b64 exec, s[42:43]                           // sgprs -> exec
_v_add_co_u32 v12, vcc, v4, v8                     // addrVgpr = C + index*bytes (lo)
_v_addc_co_u32 v13, vcc, v5, v9, vcc               // addrVgpr = C + index*bytes (hi)
_global_load_b64 v[14:15], v[12:13], off, offset:0,  sc0 sc1 // load C for beta calc
GLOBAL_OFFSET_D 12, 0, 1, sgprWorkGroup2, 8
v_mov_b32 v8, v12                                  // temp store offset 0
v_mov_b32 v9, v13                                  // temp store offset 1
v_cmp_lt_u32 s[38:39], v0, s[sgprSizesFree+0]      // coord0 < size0
v_cmp_lt_u32 s[40:41], v1, s[sgprSizesFree+1]      // coord1 < size1
s_and_b64 s[42:43], s[38:39], s[40:41]             // in0 && in1
s_mov_b64 exec, s[42:43]                           // sgprs -> exec
_v_add_co_u32 v12, vcc, v2, v8                     // addrVgpr = D + index*bytes (lo)
_v_addc_co_u32 v13, vcc, v3, v9, vcc               // addrVgpr = D + index*bytes (hi)
s_mov_b64 exec, -1                                 // full mask -1 -> exec
s_sleep 7 // optimization: sync and wait
s_barrier
v_accvgpr_read_b32 v[vgprValuC+16], acc6 // copy acc to vreg[24]
v_accvgpr_read_b32 v[vgprValuC+17], acc7 // copy acc to vreg[25]
s_nop 1                                            // 2 wait states required before reading vgpr

/* rC *= alpha batchElements=[(3, 0, 0, 0)] */
v_mul_f64 v[vgprValuC+16:vgprValuC+16+1], s[sgprAlpha:sgprAlpha+1], v[vgprValuC+16:vgprValuC+16+1] // *= alpha
s_waitcnt vmcnt(0)                                 // wait C

/* apply mask, calc new C and issue writes */
s_mov_b64 exec, s[42:43]                           // sgprs -> exec
v_fma_f64 v[vgprValuC+16:vgprValuC+16+1], v[14:15], s[sgprBeta:sgprBeta+1], v[vgprValuC+16:vgprValuC+16+1] // finalSum = sum*alpha + C*beta
_global_store_b64 v[12:13], v[16:17], off,  sc0 sc1 // store D
s_mov_b64 exec, -1                                 // full mask -> exec
s_nop 0                                            // 1 wait state required when next inst writes vgprs held by previous dwordx4 store inst
/* optSingleColVgpr=0 optSharedColVgpr=0 optSGPRUsage=None optSrdIncForRow=0 */
s_sleep 7 // optimization: sync and wait
s_barrier

/******************************************/
/* Global Write Alpha Beta Edge Batch #13 (d1,d0,vc1,vc0) = */
/*    (3,1,0,0:vw1)                       */
/******************************************/

/* calc coords, apply mask, and issue loads (if necessary) */
/* (d1,vc1,d0,vc0)=(3,0,1,0) */
_v_add_co_u32 v6, vcc, v0, 16                      // coord0.1: coord0 += d0*sg0*VW + vc0
GLOBAL_OFFSET_C 12, 6, 1, sgprWorkGroup2, 8
v_mov_b32 v8, v12                                  // temp store offset 0
v_mov_b32 v9, v13                                  // temp store offset 1
v_cmp_lt_u32 s[38:39], v6, s[sgprSizesFree+0]      // coord0 < size0
v_cmp_lt_u32 s[40:41], v1, s[sgprSizesFree+1]      // coord1 < size1
s_and_b64 s[42:43], s[38:39], s[40:41]             // in0 && in1
s_mov_b64 exec, s[42:43]                           // sgprs -> exec
_v_add_co_u32 v12, vcc, v4, v8                     // addrVgpr = C + index*bytes (lo)
_v_addc_co_u32 v13, vcc, v5, v9, vcc               // addrVgpr = C + index*bytes (hi)
_global_load_b64 v[14:15], v[12:13], off, offset:0,  sc0 sc1 // load C for beta calc
GLOBAL_OFFSET_D 12, 6, 1, sgprWorkGroup2, 8
v_mov_b32 v8, v12                                  // temp store offset 0
v_mov_b32 v9, v13                                  // temp store offset 1
v_cmp_lt_u32 s[38:39], v6, s[sgprSizesFree+0]      // coord0 < size0
v_cmp_lt_u32 s[40:41], v1, s[sgprSizesFree+1]      // coord1 < size1
s_and_b64 s[42:43], s[38:39], s[40:41]             // in0 && in1
s_mov_b64 exec, s[42:43]                           // sgprs -> exec
_v_add_co_u32 v12, vcc, v2, v8                     // addrVgpr = D + index*bytes (lo)
_v_addc_co_u32 v13, vcc, v3, v9, vcc               // addrVgpr = D + index*bytes (hi)
s_mov_b64 exec, -1                                 // full mask -1 -> exec
s_sleep 7 // optimization: sync and wait
s_barrier
v_accvgpr_read_b32 v[vgprValuC+16], acc14 // copy acc to vreg[26]
v_accvgpr_read_b32 v[vgprValuC+17], acc15 // copy acc to vreg[27]
s_nop 1                                            // 2 wait states required before reading vgpr

/* rC *= alpha batchElements=[(3, 1, 0, 0)] */
v_mul_f64 v[vgprValuC+16:vgprValuC+16+1], s[sgprAlpha:sgprAlpha+1], v[vgprValuC+16:vgprValuC+16+1] // *= alpha
s_waitcnt vmcnt(0)                                 // wait C

/* apply mask, calc new C and issue writes */
s_mov_b64 exec, s[42:43]                           // sgprs -> exec
v_fma_f64 v[vgprValuC+16:vgprValuC+16+1], v[14:15], s[sgprBeta:sgprBeta+1], v[vgprValuC+16:vgprValuC+16+1] // finalSum = sum*alpha + C*beta
_global_store_b64 v[12:13], v[16:17], off,  sc0 sc1 // store D
s_mov_b64 exec, -1                                 // full mask -> exec
s_nop 0                                            // 1 wait state required when next inst writes vgprs held by previous dwordx4 store inst
/* optSingleColVgpr=0 optSharedColVgpr=0 optSGPRUsage=None optSrdIncForRow=0 */
s_sleep 7 // optimization: sync and wait
s_barrier

/******************************************/
/* Global Write Alpha Beta Edge Batch #14 (d1,d0,vc1,vc0) = */
/*    (3,2,0,0:vw1)                       */
/******************************************/

/* calc coords, apply mask, and issue loads (if necessary) */
/* (d1,vc1,d0,vc0)=(3,0,2,0) */
_v_add_co_u32 v6, vcc, v0, 32                      // coord0.1: coord0 += d0*sg0*VW + vc0
GLOBAL_OFFSET_C 12, 6, 1, sgprWorkGroup2, 8
v_mov_b32 v8, v12                                  // temp store offset 0
v_mov_b32 v9, v13                                  // temp store offset 1
v_cmp_lt_u32 s[38:39], v6, s[sgprSizesFree+0]      // coord0 < size0
v_cmp_lt_u32 s[40:41], v1, s[sgprSizesFree+1]      // coord1 < size1
s_and_b64 s[42:43], s[38:39], s[40:41]             // in0 && in1
s_mov_b64 exec, s[42:43]                           // sgprs -> exec
_v_add_co_u32 v12, vcc, v4, v8                     // addrVgpr = C + index*bytes (lo)
_v_addc_co_u32 v13, vcc, v5, v9, vcc               // addrVgpr = C + index*bytes (hi)
_global_load_b64 v[14:15], v[12:13], off, offset:0,  sc0 sc1 // load C for beta calc
GLOBAL_OFFSET_D 12, 6, 1, sgprWorkGroup2, 8
v_mov_b32 v8, v12                                  // temp store offset 0
v_mov_b32 v9, v13                                  // temp store offset 1
v_cmp_lt_u32 s[38:39], v6, s[sgprSizesFree+0]      // coord0 < size0
v_cmp_lt_u32 s[40:41], v1, s[sgprSizesFree+1]      // coord1 < size1
s_and_b64 s[42:43], s[38:39], s[40:41]             // in0 && in1
s_mov_b64 exec, s[42:43]                           // sgprs -> exec
_v_add_co_u32 v12, vcc, v2, v8                     // addrVgpr = D + index*bytes (lo)
_v_addc_co_u32 v13, vcc, v3, v9, vcc               // addrVgpr = D + index*bytes (hi)
s_mov_b64 exec, -1                                 // full mask -1 -> exec
s_sleep 7 // optimization: sync and wait
s_barrier
v_accvgpr_read_b32 v[vgprValuC+16], acc22 // copy acc to vreg[28]
v_accvgpr_read_b32 v[vgprValuC+17], acc23 // copy acc to vreg[29]
s_nop 1                                            // 2 wait states required before reading vgpr

/* rC *= alpha batchElements=[(3, 2, 0, 0)] */
v_mul_f64 v[vgprValuC+16:vgprValuC+16+1], s[sgprAlpha:sgprAlpha+1], v[vgprValuC+16:vgprValuC+16+1] // *= alpha
s_waitcnt vmcnt(0)                                 // wait C

/* apply mask, calc new C and issue writes */
s_mov_b64 exec, s[42:43]                           // sgprs -> exec
v_fma_f64 v[vgprValuC+16:vgprValuC+16+1], v[14:15], s[sgprBeta:sgprBeta+1], v[vgprValuC+16:vgprValuC+16+1] // finalSum = sum*alpha + C*beta
_global_store_b64 v[12:13], v[16:17], off,  sc0 sc1 // store D
s_mov_b64 exec, -1                                 // full mask -> exec
s_nop 0                                            // 1 wait state required when next inst writes vgprs held by previous dwordx4 store inst
/* optSingleColVgpr=0 optSharedColVgpr=0 optSGPRUsage=None optSrdIncForRow=0 */
s_sleep 7 // optimization: sync and wait
s_barrier

/******************************************/
/* Global Write Alpha Beta Edge Batch #15 (d1,d0,vc1,vc0) = */
/*    (3,3,0,0:vw1)                       */
/******************************************/

/* calc coords, apply mask, and issue loads (if necessary) */
/* (d1,vc1,d0,vc0)=(3,0,3,0) */
_v_add_co_u32 v6, vcc, v0, 48                      // coord0.1: coord0 += d0*sg0*VW + vc0
GLOBAL_OFFSET_C 12, 6, 1, sgprWorkGroup2, 8
v_mov_b32 v8, v12                                  // temp store offset 0
v_mov_b32 v9, v13                                  // temp store offset 1
v_cmp_lt_u32 s[38:39], v6, s[sgprSizesFree+0]      // coord0 < size0
v_cmp_lt_u32 s[40:41], v1, s[sgprSizesFree+1]      // coord1 < size1
s_and_b64 s[42:43], s[38:39], s[40:41]             // in0 && in1
s_mov_b64 exec, s[42:43]                           // sgprs -> exec
_v_add_co_u32 v12, vcc, v4, v8                     // addrVgpr = C + index*bytes (lo)
_v_addc_co_u32 v13, vcc, v5, v9, vcc               // addrVgpr = C + index*bytes (hi)
_global_load_b64 v[14:15], v[12:13], off, offset:0,  sc0 sc1 // load C for beta calc
GLOBAL_OFFSET_D 12, 6, 1, sgprWorkGroup2, 8
v_mov_b32 v8, v12                                  // temp store offset 0
v_mov_b32 v9, v13                                  // temp store offset 1
v_cmp_lt_u32 s[38:39], v6, s[sgprSizesFree+0]      // coord0 < size0
v_cmp_lt_u32 s[40:41], v1, s[sgprSizesFree+1]      // coord1 < size1
s_and_b64 s[42:43], s[38:39], s[40:41]             // in0 && in1
s_mov_b64 exec, s[42:43]                           // sgprs -> exec
_v_add_co_u32 v12, vcc, v2, v8                     // addrVgpr = D + index*bytes (lo)
_v_addc_co_u32 v13, vcc, v3, v9, vcc               // addrVgpr = D + index*bytes (hi)
s_mov_b64 exec, -1                                 // full mask -1 -> exec
s_sleep 7 // optimization: sync and wait
s_barrier
v_accvgpr_read_b32 v[vgprValuC+16], acc30 // copy acc to vreg[30]
v_accvgpr_read_b32 v[vgprValuC+17], acc31 // copy acc to vreg[31]
s_nop 1                                            // 2 wait states required before reading vgpr

/* rC *= alpha batchElements=[(3, 3, 0, 0)] */
v_mul_f64 v[vgprValuC+16:vgprValuC+16+1], s[sgprAlpha:sgprAlpha+1], v[vgprValuC+16:vgprValuC+16+1] // *= alpha
s_waitcnt vmcnt(0)                                 // wait C

/* apply mask, calc new C and issue writes */
s_mov_b64 exec, s[42:43]                           // sgprs -> exec
v_fma_f64 v[vgprValuC+16:vgprValuC+16+1], v[14:15], s[sgprBeta:sgprBeta+1], v[vgprValuC+16:vgprValuC+16+1] // finalSum = sum*alpha + C*beta
_global_store_b64 v[12:13], v[16:17], off,  sc0 sc1 // store D
s_mov_b64 exec, -1                                 // full mask -> exec
s_nop 0                                            // 1 wait state required when next inst writes vgprs held by previous dwordx4 store inst
/* optSingleColVgpr=0 optSharedColVgpr=0 optSGPRUsage=None optSrdIncForRow=0 */
s_sleep 7 // optimization: sync and wait
s_barrier

/******************************************/
/* Global Write Alpha Beta Edge Batch #16 (d1,d0,vc1,vc0) = */
/*    (4,0,0,0:vw1)                       */
/******************************************/

/* calc coords, apply mask, and issue loads (if necessary) */
/* (d1,vc1,d0,vc0)=(4,0,0,0) */
_v_add_co_u32 v1, vcc, v1, 52                      // coord1.1: coord1Vgpr += d1*sg1*VW + vc1
GLOBAL_OFFSET_C 12, 0, 1, sgprWorkGroup2, 8
v_mov_b32 v8, v12                                  // temp store offset 0
v_mov_b32 v9, v13                                  // temp store offset 1
v_cmp_lt_u32 s[38:39], v0, s[sgprSizesFree+0]      // coord0 < size0
v_cmp_lt_u32 s[40:41], v1, s[sgprSizesFree+1]      // coord1 < size1
s_and_b64 s[42:43], s[38:39], s[40:41]             // in0 && in1
s_mov_b64 exec, s[42:43]                           // sgprs -> exec
_v_add_co_u32 v12, vcc, v4, v8                     // addrVgpr = C + index*bytes (lo)
_v_addc_co_u32 v13, vcc, v5, v9, vcc               // addrVgpr = C + index*bytes (hi)
_global_load_b64 v[14:15], v[12:13], off, offset:0,  sc0 sc1 // load C for beta calc
GLOBAL_OFFSET_D 12, 0, 1, sgprWorkGroup2, 8
v_mov_b32 v8, v12                                  // temp store offset 0
v_mov_b32 v9, v13                                  // temp store offset 1
v_cmp_lt_u32 s[38:39], v0, s[sgprSizesFree+0]      // coord0 < size0
v_cmp_lt_u32 s[40:41], v1, s[sgprSizesFree+1]      // coord1 < size1
s_and_b64 s[42:43], s[38:39], s[40:41]             // in0 && in1
s_mov_b64 exec, s[42:43]                           // sgprs -> exec
_v_add_co_u32 v12, vcc, v2, v8                     // addrVgpr = D + index*bytes (lo)
_v_addc_co_u32 v13, vcc, v3, v9, vcc               // addrVgpr = D + index*bytes (hi)
s_mov_b64 exec, -1                                 // full mask -1 -> exec
s_sleep 7 // optimization: sync and wait
s_barrier
v_accvgpr_read_b32 v[vgprValuC+16], acc32 // copy acc to vreg[32]
v_accvgpr_read_b32 v[vgprValuC+17], acc33 // copy acc to vreg[33]
s_nop 1                                            // 2 wait states required before reading vgpr

/* rC *= alpha batchElements=[(4, 0, 0, 0)] */
v_mul_f64 v[vgprValuC+16:vgprValuC+16+1], s[sgprAlpha:sgprAlpha+1], v[vgprValuC+16:vgprValuC+16+1] // *= alpha
s_waitcnt vmcnt(0)                                 // wait C

/* apply mask, calc new C and issue writes */
s_mov_b64 exec, s[42:43]                           // sgprs -> exec
v_fma_f64 v[vgprValuC+16:vgprValuC+16+1], v[14:15], s[sgprBeta:sgprBeta+1], v[vgprValuC+16:vgprValuC+16+1] // finalSum = sum*alpha + C*beta
_global_store_b64 v[12:13], v[16:17], off,  sc0 sc1 // store D
s_mov_b64 exec, -1                                 // full mask -> exec
s_nop 0                                            // 1 wait state required when next inst writes vgprs held by previous dwordx4 store inst
/* optSingleColVgpr=0 optSharedColVgpr=0 optSGPRUsage=None optSrdIncForRow=0 */
s_sleep 7 // optimization: sync and wait
s_barrier

/******************************************/
/* Global Write Alpha Beta Edge Batch #17 (d1,d0,vc1,vc0) = */
/*    (4,1,0,0:vw1)                       */
/******************************************/

/* calc coords, apply mask, and issue loads (if necessary) */
/* (d1,vc1,d0,vc0)=(4,0,1,0) */
_v_add_co_u32 v6, vcc, v0, 16                      // coord0.1: coord0 += d0*sg0*VW + vc0
GLOBAL_OFFSET_C 12, 6, 1, sgprWorkGroup2, 8
v_mov_b32 v8, v12                                  // temp store offset 0
v_mov_b32 v9, v13                                  // temp store offset 1
v_cmp_lt_u32 s[38:39], v6, s[sgprSizesFree+0]      // coord0 < size0
v_cmp_lt_u32 s[40:41], v1, s[sgprSizesFree+1]      // coord1 < size1
s_and_b64 s[42:43], s[38:39], s[40:41]             // in0 && in1
s_mov_b64 exec, s[42:43]                           // sgprs -> exec
_v_add_co_u32 v12, vcc, v4, v8                     // addrVgpr = C + index*bytes (lo)
_v_addc_co_u32 v13, vcc, v5, v9, vcc               // addrVgpr = C + index*bytes (hi)
_global_load_b64 v[14:15], v[12:13], off, offset:0,  sc0 sc1 // load C for beta calc
GLOBAL_OFFSET_D 12, 6, 1, sgprWorkGroup2, 8
v_mov_b32 v8, v12                                  // temp store offset 0
v_mov_b32 v9, v13                                  // temp store offset 1
v_cmp_lt_u32 s[38:39], v6, s[sgprSizesFree+0]      // coord0 < size0
v_cmp_lt_u32 s[40:41], v1, s[sgprSizesFree+1]      // coord1 < size1
s_and_b64 s[42:43], s[38:39], s[40:41]             // in0 && in1
s_mov_b64 exec, s[42:43]                           // sgprs -> exec
_v_add_co_u32 v12, vcc, v2, v8                     // addrVgpr = D + index*bytes (lo)
_v_addc_co_u32 v13, vcc, v3, v9, vcc               // addrVgpr = D + index*bytes (hi)
s_mov_b64 exec, -1                                 // full mask -1 -> exec
s_sleep 7 // optimization: sync and wait
s_barrier
v_accvgpr_read_b32 v[vgprValuC+16], acc40 // copy acc to vreg[34]
v_accvgpr_read_b32 v[vgprValuC+17], acc41 // copy acc to vreg[35]
s_nop 1                                            // 2 wait states required before reading vgpr

/* rC *= alpha batchElements=[(4, 1, 0, 0)] */
v_mul_f64 v[vgprValuC+16:vgprValuC+16+1], s[sgprAlpha:sgprAlpha+1], v[vgprValuC+16:vgprValuC+16+1] // *= alpha
s_waitcnt vmcnt(0)                                 // wait C

/* apply mask, calc new C and issue writes */
s_mov_b64 exec, s[42:43]                           // sgprs -> exec
v_fma_f64 v[vgprValuC+16:vgprValuC+16+1], v[14:15], s[sgprBeta:sgprBeta+1], v[vgprValuC+16:vgprValuC+16+1] // finalSum = sum*alpha + C*beta
_global_store_b64 v[12:13], v[16:17], off,  sc0 sc1 // store D
s_mov_b64 exec, -1                                 // full mask -> exec
s_nop 0                                            // 1 wait state required when next inst writes vgprs held by previous dwordx4 store inst
/* optSingleColVgpr=0 optSharedColVgpr=0 optSGPRUsage=None optSrdIncForRow=0 */
s_sleep 7 // optimization: sync and wait
s_barrier

/******************************************/
/* Global Write Alpha Beta Edge Batch #18 (d1,d0,vc1,vc0) = */
/*    (4,2,0,0:vw1)                       */
/******************************************/

/* calc coords, apply mask, and issue loads (if necessary) */
/* (d1,vc1,d0,vc0)=(4,0,2,0) */
_v_add_co_u32 v6, vcc, v0, 32                      // coord0.1: coord0 += d0*sg0*VW + vc0
GLOBAL_OFFSET_C 12, 6, 1, sgprWorkGroup2, 8
v_mov_b32 v8, v12                                  // temp store offset 0
v_mov_b32 v9, v13                                  // temp store offset 1
v_cmp_lt_u32 s[38:39], v6, s[sgprSizesFree+0]      // coord0 < size0
v_cmp_lt_u32 s[40:41], v1, s[sgprSizesFree+1]      // coord1 < size1
s_and_b64 s[42:43], s[38:39], s[40:41]             // in0 && in1
s_mov_b64 exec, s[42:43]                           // sgprs -> exec
_v_add_co_u32 v12, vcc, v4, v8                     // addrVgpr = C + index*bytes (lo)
_v_addc_co_u32 v13, vcc, v5, v9, vcc               // addrVgpr = C + index*bytes (hi)
_global_load_b64 v[14:15], v[12:13], off, offset:0,  sc0 sc1 // load C for beta calc
GLOBAL_OFFSET_D 12, 6, 1, sgprWorkGroup2, 8
v_mov_b32 v8, v12                                  // temp store offset 0
v_mov_b32 v9, v13                                  // temp store offset 1
v_cmp_lt_u32 s[38:39], v6, s[sgprSizesFree+0]      // coord0 < size0
v_cmp_lt_u32 s[40:41], v1, s[sgprSizesFree+1]      // coord1 < size1
s_and_b64 s[42:43], s[38:39], s[40:41]             // in0 && in1
s_mov_b64 exec, s[42:43]                           // sgprs -> exec
_v_add_co_u32 v12, vcc, v2, v8                     // addrVgpr = D + index*bytes (lo)
_v_addc_co_u32 v13, vcc, v3, v9, vcc               // addrVgpr = D + index*bytes (hi)
s_mov_b64 exec, -1                                 // full mask -1 -> exec
s_sleep 7 // optimization: sync and wait
s_barrier
v_accvgpr_read_b32 v[vgprValuC+16], acc48 // copy acc to vreg[36]
v_accvgpr_read_b32 v[vgprValuC+17], acc49 // copy acc to vreg[37]
s_nop 1                                            // 2 wait states required before reading vgpr

/* rC *= alpha batchElements=[(4, 2, 0, 0)] */
v_mul_f64 v[vgprValuC+16:vgprValuC+16+1], s[sgprAlpha:sgprAlpha+1], v[vgprValuC+16:vgprValuC+16+1] // *= alpha
s_waitcnt vmcnt(0)                                 // wait C

/* apply mask, calc new C and issue writes */
s_mov_b64 exec, s[42:43]                           // sgprs -> exec
v_fma_f64 v[vgprValuC+16:vgprValuC+16+1], v[14:15], s[sgprBeta:sgprBeta+1], v[vgprValuC+16:vgprValuC+16+1] // finalSum = sum*alpha + C*beta
_global_store_b64 v[12:13], v[16:17], off,  sc0 sc1 // store D
s_mov_b64 exec, -1                                 // full mask -> exec
s_nop 0                                            // 1 wait state required when next inst writes vgprs held by previous dwordx4 store inst
/* optSingleColVgpr=0 optSharedColVgpr=0 optSGPRUsage=None optSrdIncForRow=0 */
s_sleep 7 // optimization: sync and wait
s_barrier

/******************************************/
/* Global Write Alpha Beta Edge Batch #19 (d1,d0,vc1,vc0) = */
/*    (4,3,0,0:vw1)                       */
/******************************************/

/* calc coords, apply mask, and issue loads (if necessary) */
/* (d1,vc1,d0,vc0)=(4,0,3,0) */
_v_add_co_u32 v6, vcc, v0, 48                      // coord0.1: coord0 += d0*sg0*VW + vc0
GLOBAL_OFFSET_C 12, 6, 1, sgprWorkGroup2, 8
v_mov_b32 v8, v12                                  // temp store offset 0
v_mov_b32 v9, v13                                  // temp store offset 1
v_cmp_lt_u32 s[38:39], v6, s[sgprSizesFree+0]      // coord0 < size0
v_cmp_lt_u32 s[40:41], v1, s[sgprSizesFree+1]      // coord1 < size1
s_and_b64 s[42:43], s[38:39], s[40:41]             // in0 && in1
s_mov_b64 exec, s[42:43]                           // sgprs -> exec
_v_add_co_u32 v12, vcc, v4, v8                     // addrVgpr = C + index*bytes (lo)
_v_addc_co_u32 v13, vcc, v5, v9, vcc               // addrVgpr = C + index*bytes (hi)
_global_load_b64 v[14:15], v[12:13], off, offset:0,  sc0 sc1 // load C for beta calc
GLOBAL_OFFSET_D 12, 6, 1, sgprWorkGroup2, 8
v_mov_b32 v8, v12                                  // temp store offset 0
v_mov_b32 v9, v13                                  // temp store offset 1
v_cmp_lt_u32 s[38:39], v6, s[sgprSizesFree+0]      // coord0 < size0
v_cmp_lt_u32 s[40:41], v1, s[sgprSizesFree+1]      // coord1 < size1
s_and_b64 s[42:43], s[38:39], s[40:41]             // in0 && in1
s_mov_b64 exec, s[42:43]                           // sgprs -> exec
_v_add_co_u32 v12, vcc, v2, v8                     // addrVgpr = D + index*bytes (lo)
_v_addc_co_u32 v13, vcc, v3, v9, vcc               // addrVgpr = D + index*bytes (hi)
s_mov_b64 exec, -1                                 // full mask -1 -> exec
s_sleep 7 // optimization: sync and wait
s_barrier
v_accvgpr_read_b32 v[vgprValuC+16], acc56 // copy acc to vreg[38]
v_accvgpr_read_b32 v[vgprValuC+17], acc57 // copy acc to vreg[39]
s_nop 1                                            // 2 wait states required before reading vgpr

/* rC *= alpha batchElements=[(4, 3, 0, 0)] */
v_mul_f64 v[vgprValuC+16:vgprValuC+16+1], s[sgprAlpha:sgprAlpha+1], v[vgprValuC+16:vgprValuC+16+1] // *= alpha
s_waitcnt vmcnt(0)                                 // wait C

/* apply mask, calc new C and issue writes */
s_mov_b64 exec, s[42:43]                           // sgprs -> exec
v_fma_f64 v[vgprValuC+16:vgprValuC+16+1], v[14:15], s[sgprBeta:sgprBeta+1], v[vgprValuC+16:vgprValuC+16+1] // finalSum = sum*alpha + C*beta
_global_store_b64 v[12:13], v[16:17], off,  sc0 sc1 // store D
s_mov_b64 exec, -1                                 // full mask -> exec
s_nop 0                                            // 1 wait state required when next inst writes vgprs held by previous dwordx4 store inst
/* optSingleColVgpr=0 optSharedColVgpr=0 optSGPRUsage=None optSrdIncForRow=0 */
s_sleep 7 // optimization: sync and wait
s_barrier

/******************************************/
/* Global Write Alpha Beta Edge Batch #20 (d1,d0,vc1,vc0) = */
/*    (5,0,0,0:vw1)                       */
/******************************************/

/* calc coords, apply mask, and issue loads (if necessary) */
/* (d1,vc1,d0,vc0)=(5,0,0,0) */
_v_add_co_u32 v1, vcc, v1, 4                       // coord1.1: coord1Vgpr += d1*sg1*VW + vc1
GLOBAL_OFFSET_C 12, 0, 1, sgprWorkGroup2, 8
v_mov_b32 v8, v12                                  // temp store offset 0
v_mov_b32 v9, v13                                  // temp store offset 1
v_cmp_lt_u32 s[38:39], v0, s[sgprSizesFree+0]      // coord0 < size0
v_cmp_lt_u32 s[40:41], v1, s[sgprSizesFree+1]      // coord1 < size1
s_and_b64 s[42:43], s[38:39], s[40:41]             // in0 && in1
s_mov_b64 exec, s[42:43]                           // sgprs -> exec
_v_add_co_u32 v12, vcc, v4, v8                     // addrVgpr = C + index*bytes (lo)
_v_addc_co_u32 v13, vcc, v5, v9, vcc               // addrVgpr = C + index*bytes (hi)
_global_load_b64 v[14:15], v[12:13], off, offset:0,  sc0 sc1 // load C for beta calc
GLOBAL_OFFSET_D 12, 0, 1, sgprWorkGroup2, 8
v_mov_b32 v8, v12                                  // temp store offset 0
v_mov_b32 v9, v13                                  // temp store offset 1
v_cmp_lt_u32 s[38:39], v0, s[sgprSizesFree+0]      // coord0 < size0
v_cmp_lt_u32 s[40:41], v1, s[sgprSizesFree+1]      // coord1 < size1
s_and_b64 s[42:43], s[38:39], s[40:41]             // in0 && in1
s_mov_b64 exec, s[42:43]                           // sgprs -> exec
_v_add_co_u32 v12, vcc, v2, v8                     // addrVgpr = D + index*bytes (lo)
_v_addc_co_u32 v13, vcc, v3, v9, vcc               // addrVgpr = D + index*bytes (hi)
s_mov_b64 exec, -1                                 // full mask -1 -> exec
s_sleep 7 // optimization: sync and wait
s_barrier
v_accvgpr_read_b32 v[vgprValuC+16], acc34 // copy acc to vreg[40]
v_accvgpr_read_b32 v[vgprValuC+17], acc35 // copy acc to vreg[41]
s_nop 1                                            // 2 wait states required before reading vgpr

/* rC *= alpha batchElements=[(5, 0, 0, 0)] */
v_mul_f64 v[vgprValuC+16:vgprValuC+16+1], s[sgprAlpha:sgprAlpha+1], v[vgprValuC+16:vgprValuC+16+1] // *= alpha
s_waitcnt vmcnt(0)                                 // wait C

/* apply mask, calc new C and issue writes */
s_mov_b64 exec, s[42:43]                           // sgprs -> exec
v_fma_f64 v[vgprValuC+16:vgprValuC+16+1], v[14:15], s[sgprBeta:sgprBeta+1], v[vgprValuC+16:vgprValuC+16+1] // finalSum = sum*alpha + C*beta
_global_store_b64 v[12:13], v[16:17], off,  sc0 sc1 // store D
s_mov_b64 exec, -1                                 // full mask -> exec
s_nop 0                                            // 1 wait state required when next inst writes vgprs held by previous dwordx4 store inst
/* optSingleColVgpr=0 optSharedColVgpr=0 optSGPRUsage=None optSrdIncForRow=0 */
s_sleep 7 // optimization: sync and wait
s_barrier

/******************************************/
/* Global Write Alpha Beta Edge Batch #21 (d1,d0,vc1,vc0) = */
/*    (5,1,0,0:vw1)                       */
/******************************************/

/* calc coords, apply mask, and issue loads (if necessary) */
/* (d1,vc1,d0,vc0)=(5,0,1,0) */
_v_add_co_u32 v6, vcc, v0, 16                      // coord0.1: coord0 += d0*sg0*VW + vc0
GLOBAL_OFFSET_C 12, 6, 1, sgprWorkGroup2, 8
v_mov_b32 v8, v12                                  // temp store offset 0
v_mov_b32 v9, v13                                  // temp store offset 1
v_cmp_lt_u32 s[38:39], v6, s[sgprSizesFree+0]      // coord0 < size0
v_cmp_lt_u32 s[40:41], v1, s[sgprSizesFree+1]      // coord1 < size1
s_and_b64 s[42:43], s[38:39], s[40:41]             // in0 && in1
s_mov_b64 exec, s[42:43]                           // sgprs -> exec
_v_add_co_u32 v12, vcc, v4, v8                     // addrVgpr = C + index*bytes (lo)
_v_addc_co_u32 v13, vcc, v5, v9, vcc               // addrVgpr = C + index*bytes (hi)
_global_load_b64 v[14:15], v[12:13], off, offset:0,  sc0 sc1 // load C for beta calc
GLOBAL_OFFSET_D 12, 6, 1, sgprWorkGroup2, 8
v_mov_b32 v8, v12                                  // temp store offset 0
v_mov_b32 v9, v13                                  // temp store offset 1
v_cmp_lt_u32 s[38:39], v6, s[sgprSizesFree+0]      // coord0 < size0
v_cmp_lt_u32 s[40:41], v1, s[sgprSizesFree+1]      // coord1 < size1
s_and_b64 s[42:43], s[38:39], s[40:41]             // in0 && in1
s_mov_b64 exec, s[42:43]                           // sgprs -> exec
_v_add_co_u32 v12, vcc, v2, v8                     // addrVgpr = D + index*bytes (lo)
_v_addc_co_u32 v13, vcc, v3, v9, vcc               // addrVgpr = D + index*bytes (hi)
s_mov_b64 exec, -1                                 // full mask -1 -> exec
s_sleep 7 // optimization: sync and wait
s_barrier
v_accvgpr_read_b32 v[vgprValuC+16], acc42 // copy acc to vreg[42]
v_accvgpr_read_b32 v[vgprValuC+17], acc43 // copy acc to vreg[43]
s_nop 1                                            // 2 wait states required before reading vgpr

/* rC *= alpha batchElements=[(5, 1, 0, 0)] */
v_mul_f64 v[vgprValuC+16:vgprValuC+16+1], s[sgprAlpha:sgprAlpha+1], v[vgprValuC+16:vgprValuC+16+1] // *= alpha
s_waitcnt vmcnt(0)                                 // wait C

/* apply mask, calc new C and issue writes */
s_mov_b64 exec, s[42:43]                           // sgprs -> exec
v_fma_f64 v[vgprValuC+16:vgprValuC+16+1], v[14:15], s[sgprBeta:sgprBeta+1], v[vgprValuC+16:vgprValuC+16+1] // finalSum = sum*alpha + C*beta
_global_store_b64 v[12:13], v[16:17], off,  sc0 sc1 // store D
s_mov_b64 exec, -1                                 // full mask -> exec
s_nop 0                                            // 1 wait state required when next inst writes vgprs held by previous dwordx4 store inst
/* optSingleColVgpr=0 optSharedColVgpr=0 optSGPRUsage=None optSrdIncForRow=0 */
s_sleep 7 // optimization: sync and wait
s_barrier

/******************************************/
/* Global Write Alpha Beta Edge Batch #22 (d1,d0,vc1,vc0) = */
/*    (5,2,0,0:vw1)                       */
/******************************************/

/* calc coords, apply mask, and issue loads (if necessary) */
/* (d1,vc1,d0,vc0)=(5,0,2,0) */
_v_add_co_u32 v6, vcc, v0, 32                      // coord0.1: coord0 += d0*sg0*VW + vc0
GLOBAL_OFFSET_C 12, 6, 1, sgprWorkGroup2, 8
v_mov_b32 v8, v12                                  // temp store offset 0
v_mov_b32 v9, v13                                  // temp store offset 1
v_cmp_lt_u32 s[38:39], v6, s[sgprSizesFree+0]      // coord0 < size0
v_cmp_lt_u32 s[40:41], v1, s[sgprSizesFree+1]      // coord1 < size1
s_and_b64 s[42:43], s[38:39], s[40:41]             // in0 && in1
s_mov_b64 exec, s[42:43]                           // sgprs -> exec
_v_add_co_u32 v12, vcc, v4, v8                     // addrVgpr = C + index*bytes (lo)
_v_addc_co_u32 v13, vcc, v5, v9, vcc               // addrVgpr = C + index*bytes (hi)
_global_load_b64 v[14:15], v[12:13], off, offset:0,  sc0 sc1 // load C for beta calc
GLOBAL_OFFSET_D 12, 6, 1, sgprWorkGroup2, 8
v_mov_b32 v8, v12                                  // temp store offset 0
v_mov_b32 v9, v13                                  // temp store offset 1
v_cmp_lt_u32 s[38:39], v6, s[sgprSizesFree+0]      // coord0 < size0
v_cmp_lt_u32 s[40:41], v1, s[sgprSizesFree+1]      // coord1 < size1
s_and_b64 s[42:43], s[38:39], s[40:41]             // in0 && in1
s_mov_b64 exec, s[42:43]                           // sgprs -> exec
_v_add_co_u32 v12, vcc, v2, v8                     // addrVgpr = D + index*bytes (lo)
_v_addc_co_u32 v13, vcc, v3, v9, vcc               // addrVgpr = D + index*bytes (hi)
s_mov_b64 exec, -1                                 // full mask -1 -> exec
s_sleep 7 // optimization: sync and wait
s_barrier
v_accvgpr_read_b32 v[vgprValuC+16], acc50 // copy acc to vreg[44]
v_accvgpr_read_b32 v[vgprValuC+17], acc51 // copy acc to vreg[45]
s_nop 1                                            // 2 wait states required before reading vgpr

/* rC *= alpha batchElements=[(5, 2, 0, 0)] */
v_mul_f64 v[vgprValuC+16:vgprValuC+16+1], s[sgprAlpha:sgprAlpha+1], v[vgprValuC+16:vgprValuC+16+1] // *= alpha
s_waitcnt vmcnt(0)                                 // wait C

/* apply mask, calc new C and issue writes */
s_mov_b64 exec, s[42:43]                           // sgprs -> exec
v_fma_f64 v[vgprValuC+16:vgprValuC+16+1], v[14:15], s[sgprBeta:sgprBeta+1], v[vgprValuC+16:vgprValuC+16+1] // finalSum = sum*alpha + C*beta
_global_store_b64 v[12:13], v[16:17], off,  sc0 sc1 // store D
s_mov_b64 exec, -1                                 // full mask -> exec
s_nop 0                                            // 1 wait state required when next inst writes vgprs held by previous dwordx4 store inst
/* optSingleColVgpr=0 optSharedColVgpr=0 optSGPRUsage=None optSrdIncForRow=0 */
s_sleep 7 // optimization: sync and wait
s_barrier

/******************************************/
/* Global Write Alpha Beta Edge Batch #23 (d1,d0,vc1,vc0) = */
/*    (5,3,0,0:vw1)                       */
/******************************************/

/* calc coords, apply mask, and issue loads (if necessary) */
/* (d1,vc1,d0,vc0)=(5,0,3,0) */
_v_add_co_u32 v6, vcc, v0, 48                      // coord0.1: coord0 += d0*sg0*VW + vc0
GLOBAL_OFFSET_C 12, 6, 1, sgprWorkGroup2, 8
v_mov_b32 v8, v12                                  // temp store offset 0
v_mov_b32 v9, v13                                  // temp store offset 1
v_cmp_lt_u32 s[38:39], v6, s[sgprSizesFree+0]      // coord0 < size0
v_cmp_lt_u32 s[40:41], v1, s[sgprSizesFree+1]      // coord1 < size1
s_and_b64 s[42:43], s[38:39], s[40:41]             // in0 && in1
s_mov_b64 exec, s[42:43]                           // sgprs -> exec
_v_add_co_u32 v12, vcc, v4, v8                     // addrVgpr = C + index*bytes (lo)
_v_addc_co_u32 v13, vcc, v5, v9, vcc               // addrVgpr = C + index*bytes (hi)
_global_load_b64 v[14:15], v[12:13], off, offset:0,  sc0 sc1 // load C for beta calc
GLOBAL_OFFSET_D 12, 6, 1, sgprWorkGroup2, 8
v_mov_b32 v8, v12                                  // temp store offset 0
v_mov_b32 v9, v13                                  // temp store offset 1
v_cmp_lt_u32 s[38:39], v6, s[sgprSizesFree+0]      // coord0 < size0
v_cmp_lt_u32 s[40:41], v1, s[sgprSizesFree+1]      // coord1 < size1
s_and_b64 s[42:43], s[38:39], s[40:41]             // in0 && in1
s_mov_b64 exec, s[42:43]                           // sgprs -> exec
_v_add_co_u32 v12, vcc, v2, v8                     // addrVgpr = D + index*bytes (lo)
_v_addc_co_u32 v13, vcc, v3, v9, vcc               // addrVgpr = D + index*bytes (hi)
s_mov_b64 exec, -1                                 // full mask -1 -> exec
s_sleep 7 // optimization: sync and wait
s_barrier
v_accvgpr_read_b32 v[vgprValuC+16], acc58 // copy acc to vreg[46]
v_accvgpr_read_b32 v[vgprValuC+17], acc59 // copy acc to vreg[47]
s_nop 1                                            // 2 wait states required before reading vgpr

/* rC *= alpha batchElements=[(5, 3, 0, 0)] */
v_mul_f64 v[vgprValuC+16:vgprValuC+16+1], s[sgprAlpha:sgprAlpha+1], v[vgprValuC+16:vgprValuC+16+1] // *= alpha
s_waitcnt vmcnt(0)                                 // wait C

/* apply mask, calc new C and issue writes */
s_mov_b64 exec, s[42:43]                           // sgprs -> exec
v_fma_f64 v[vgprValuC+16:vgprValuC+16+1], v[14:15], s[sgprBeta:sgprBeta+1], v[vgprValuC+16:vgprValuC+16+1] // finalSum = sum*alpha + C*beta
_global_store_b64 v[12:13], v[16:17], off,  sc0 sc1 // store D
s_mov_b64 exec, -1                                 // full mask -> exec
s_nop 0                                            // 1 wait state required when next inst writes vgprs held by previous dwordx4 store inst
/* optSingleColVgpr=0 optSharedColVgpr=0 optSGPRUsage=None optSrdIncForRow=0 */
s_sleep 7 // optimization: sync and wait
s_barrier

/******************************************/
/* Global Write Alpha Beta Edge Batch #24 (d1,d0,vc1,vc0) = */
/*    (6,0,0,0:vw1)                       */
/******************************************/

/* calc coords, apply mask, and issue loads (if necessary) */
/* (d1,vc1,d0,vc0)=(6,0,0,0) */
_v_add_co_u32 v1, vcc, v1, 4                       // coord1.1: coord1Vgpr += d1*sg1*VW + vc1
GLOBAL_OFFSET_C 12, 0, 1, sgprWorkGroup2, 8
v_mov_b32 v8, v12                                  // temp store offset 0
v_mov_b32 v9, v13                                  // temp store offset 1
v_cmp_lt_u32 s[38:39], v0, s[sgprSizesFree+0]      // coord0 < size0
v_cmp_lt_u32 s[40:41], v1, s[sgprSizesFree+1]      // coord1 < size1
s_and_b64 s[42:43], s[38:39], s[40:41]             // in0 && in1
s_mov_b64 exec, s[42:43]                           // sgprs -> exec
_v_add_co_u32 v12, vcc, v4, v8                     // addrVgpr = C + index*bytes (lo)
_v_addc_co_u32 v13, vcc, v5, v9, vcc               // addrVgpr = C + index*bytes (hi)
_global_load_b64 v[14:15], v[12:13], off, offset:0,  sc0 sc1 // load C for beta calc
GLOBAL_OFFSET_D 12, 0, 1, sgprWorkGroup2, 8
v_mov_b32 v8, v12                                  // temp store offset 0
v_mov_b32 v9, v13                                  // temp store offset 1
v_cmp_lt_u32 s[38:39], v0, s[sgprSizesFree+0]      // coord0 < size0
v_cmp_lt_u32 s[40:41], v1, s[sgprSizesFree+1]      // coord1 < size1
s_and_b64 s[42:43], s[38:39], s[40:41]             // in0 && in1
s_mov_b64 exec, s[42:43]                           // sgprs -> exec
_v_add_co_u32 v12, vcc, v2, v8                     // addrVgpr = D + index*bytes (lo)
_v_addc_co_u32 v13, vcc, v3, v9, vcc               // addrVgpr = D + index*bytes (hi)
s_mov_b64 exec, -1                                 // full mask -1 -> exec
s_sleep 7 // optimization: sync and wait
s_barrier
v_accvgpr_read_b32 v[vgprValuC+16], acc36 // copy acc to vreg[48]
v_accvgpr_read_b32 v[vgprValuC+17], acc37 // copy acc to vreg[49]
s_nop 1                                            // 2 wait states required before reading vgpr

/* rC *= alpha batchElements=[(6, 0, 0, 0)] */
v_mul_f64 v[vgprValuC+16:vgprValuC+16+1], s[sgprAlpha:sgprAlpha+1], v[vgprValuC+16:vgprValuC+16+1] // *= alpha
s_waitcnt vmcnt(0)                                 // wait C

/* apply mask, calc new C and issue writes */
s_mov_b64 exec, s[42:43]                           // sgprs -> exec
v_fma_f64 v[vgprValuC+16:vgprValuC+16+1], v[14:15], s[sgprBeta:sgprBeta+1], v[vgprValuC+16:vgprValuC+16+1] // finalSum = sum*alpha + C*beta
_global_store_b64 v[12:13], v[16:17], off,  sc0 sc1 // store D
s_mov_b64 exec, -1                                 // full mask -> exec
s_nop 0                                            // 1 wait state required when next inst writes vgprs held by previous dwordx4 store inst
/* optSingleColVgpr=0 optSharedColVgpr=0 optSGPRUsage=None optSrdIncForRow=0 */
s_sleep 7 // optimization: sync and wait
s_barrier

/******************************************/
/* Global Write Alpha Beta Edge Batch #25 (d1,d0,vc1,vc0) = */
/*    (6,1,0,0:vw1)                       */
/******************************************/

/* calc coords, apply mask, and issue loads (if necessary) */
/* (d1,vc1,d0,vc0)=(6,0,1,0) */
_v_add_co_u32 v6, vcc, v0, 16                      // coord0.1: coord0 += d0*sg0*VW + vc0
GLOBAL_OFFSET_C 12, 6, 1, sgprWorkGroup2, 8
v_mov_b32 v8, v12                                  // temp store offset 0
v_mov_b32 v9, v13                                  // temp store offset 1
v_cmp_lt_u32 s[38:39], v6, s[sgprSizesFree+0]      // coord0 < size0
v_cmp_lt_u32 s[40:41], v1, s[sgprSizesFree+1]      // coord1 < size1
s_and_b64 s[42:43], s[38:39], s[40:41]             // in0 && in1
s_mov_b64 exec, s[42:43]                           // sgprs -> exec
_v_add_co_u32 v12, vcc, v4, v8                     // addrVgpr = C + index*bytes (lo)
_v_addc_co_u32 v13, vcc, v5, v9, vcc               // addrVgpr = C + index*bytes (hi)
_global_load_b64 v[14:15], v[12:13], off, offset:0,  sc0 sc1 // load C for beta calc
GLOBAL_OFFSET_D 12, 6, 1, sgprWorkGroup2, 8
v_mov_b32 v8, v12                                  // temp store offset 0
v_mov_b32 v9, v13                                  // temp store offset 1
v_cmp_lt_u32 s[38:39], v6, s[sgprSizesFree+0]      // coord0 < size0
v_cmp_lt_u32 s[40:41], v1, s[sgprSizesFree+1]      // coord1 < size1
s_and_b64 s[42:43], s[38:39], s[40:41]             // in0 && in1
s_mov_b64 exec, s[42:43]                           // sgprs -> exec
_v_add_co_u32 v12, vcc, v2, v8                     // addrVgpr = D + index*bytes (lo)
_v_addc_co_u32 v13, vcc, v3, v9, vcc               // addrVgpr = D + index*bytes (hi)
s_mov_b64 exec, -1                                 // full mask -1 -> exec
s_sleep 7 // optimization: sync and wait
s_barrier
v_accvgpr_read_b32 v[vgprValuC+16], acc44 // copy acc to vreg[50]
v_accvgpr_read_b32 v[vgprValuC+17], acc45 // copy acc to vreg[51]
s_nop 1                                            // 2 wait states required before reading vgpr

/* rC *= alpha batchElements=[(6, 1, 0, 0)] */
v_mul_f64 v[vgprValuC+16:vgprValuC+16+1], s[sgprAlpha:sgprAlpha+1], v[vgprValuC+16:vgprValuC+16+1] // *= alpha
s_waitcnt vmcnt(0)                                 // wait C

/* apply mask, calc new C and issue writes */
s_mov_b64 exec, s[42:43]                           // sgprs -> exec
v_fma_f64 v[vgprValuC+16:vgprValuC+16+1], v[14:15], s[sgprBeta:sgprBeta+1], v[vgprValuC+16:vgprValuC+16+1] // finalSum = sum*alpha + C*beta
_global_store_b64 v[12:13], v[16:17], off,  sc0 sc1 // store D
s_mov_b64 exec, -1                                 // full mask -> exec
s_nop 0                                            // 1 wait state required when next inst writes vgprs held by previous dwordx4 store inst
/* optSingleColVgpr=0 optSharedColVgpr=0 optSGPRUsage=None optSrdIncForRow=0 */
s_sleep 7 // optimization: sync and wait
s_barrier

/******************************************/
/* Global Write Alpha Beta Edge Batch #26 (d1,d0,vc1,vc0) = */
/*    (6,2,0,0:vw1)                       */
/******************************************/

/* calc coords, apply mask, and issue loads (if necessary) */
/* (d1,vc1,d0,vc0)=(6,0,2,0) */
_v_add_co_u32 v6, vcc, v0, 32                      // coord0.1: coord0 += d0*sg0*VW + vc0
GLOBAL_OFFSET_C 12, 6, 1, sgprWorkGroup2, 8
v_mov_b32 v8, v12                                  // temp store offset 0
v_mov_b32 v9, v13                                  // temp store offset 1
v_cmp_lt_u32 s[38:39], v6, s[sgprSizesFree+0]      // coord0 < size0
v_cmp_lt_u32 s[40:41], v1, s[sgprSizesFree+1]      // coord1 < size1
s_and_b64 s[42:43], s[38:39], s[40:41]             // in0 && in1
s_mov_b64 exec, s[42:43]                           // sgprs -> exec
_v_add_co_u32 v12, vcc, v4, v8                     // addrVgpr = C + index*bytes (lo)
_v_addc_co_u32 v13, vcc, v5, v9, vcc               // addrVgpr = C + index*bytes (hi)
_global_load_b64 v[14:15], v[12:13], off, offset:0,  sc0 sc1 // load C for beta calc
GLOBAL_OFFSET_D 12, 6, 1, sgprWorkGroup2, 8
v_mov_b32 v8, v12                                  // temp store offset 0
v_mov_b32 v9, v13                                  // temp store offset 1
v_cmp_lt_u32 s[38:39], v6, s[sgprSizesFree+0]      // coord0 < size0
v_cmp_lt_u32 s[40:41], v1, s[sgprSizesFree+1]      // coord1 < size1
s_and_b64 s[42:43], s[38:39], s[40:41]             // in0 && in1
s_mov_b64 exec, s[42:43]                           // sgprs -> exec
_v_add_co_u32 v12, vcc, v2, v8                     // addrVgpr = D + index*bytes (lo)
_v_addc_co_u32 v13, vcc, v3, v9, vcc               // addrVgpr = D + index*bytes (hi)
s_mov_b64 exec, -1                                 // full mask -1 -> exec
s_sleep 7 // optimization: sync and wait
s_barrier
v_accvgpr_read_b32 v[vgprValuC+16], acc52 // copy acc to vreg[52]
v_accvgpr_read_b32 v[vgprValuC+17], acc53 // copy acc to vreg[53]
s_nop 1                                            // 2 wait states required before reading vgpr

/* rC *= alpha batchElements=[(6, 2, 0, 0)] */
v_mul_f64 v[vgprValuC+16:vgprValuC+16+1], s[sgprAlpha:sgprAlpha+1], v[vgprValuC+16:vgprValuC+16+1] // *= alpha
s_waitcnt vmcnt(0)                                 // wait C

/* apply mask, calc new C and issue writes */
s_mov_b64 exec, s[42:43]                           // sgprs -> exec
v_fma_f64 v[vgprValuC+16:vgprValuC+16+1], v[14:15], s[sgprBeta:sgprBeta+1], v[vgprValuC+16:vgprValuC+16+1] // finalSum = sum*alpha + C*beta
_global_store_b64 v[12:13], v[16:17], off,  sc0 sc1 // store D
s_mov_b64 exec, -1                                 // full mask -> exec
s_nop 0                                            // 1 wait state required when next inst writes vgprs held by previous dwordx4 store inst
/* optSingleColVgpr=0 optSharedColVgpr=0 optSGPRUsage=None optSrdIncForRow=0 */
s_sleep 7 // optimization: sync and wait
s_barrier

/******************************************/
/* Global Write Alpha Beta Edge Batch #27 (d1,d0,vc1,vc0) = */
/*    (6,3,0,0:vw1)                       */
/******************************************/

/* calc coords, apply mask, and issue loads (if necessary) */
/* (d1,vc1,d0,vc0)=(6,0,3,0) */
_v_add_co_u32 v6, vcc, v0, 48                      // coord0.1: coord0 += d0*sg0*VW + vc0
GLOBAL_OFFSET_C 12, 6, 1, sgprWorkGroup2, 8
v_mov_b32 v8, v12                                  // temp store offset 0
v_mov_b32 v9, v13                                  // temp store offset 1
v_cmp_lt_u32 s[38:39], v6, s[sgprSizesFree+0]      // coord0 < size0
v_cmp_lt_u32 s[40:41], v1, s[sgprSizesFree+1]      // coord1 < size1
s_and_b64 s[42:43], s[38:39], s[40:41]             // in0 && in1
s_mov_b64 exec, s[42:43]                           // sgprs -> exec
_v_add_co_u32 v12, vcc, v4, v8                     // addrVgpr = C + index*bytes (lo)
_v_addc_co_u32 v13, vcc, v5, v9, vcc               // addrVgpr = C + index*bytes (hi)
_global_load_b64 v[14:15], v[12:13], off, offset:0,  sc0 sc1 // load C for beta calc
GLOBAL_OFFSET_D 12, 6, 1, sgprWorkGroup2, 8
v_mov_b32 v8, v12                                  // temp store offset 0
v_mov_b32 v9, v13                                  // temp store offset 1
v_cmp_lt_u32 s[38:39], v6, s[sgprSizesFree+0]      // coord0 < size0
v_cmp_lt_u32 s[40:41], v1, s[sgprSizesFree+1]      // coord1 < size1
s_and_b64 s[42:43], s[38:39], s[40:41]             // in0 && in1
s_mov_b64 exec, s[42:43]                           // sgprs -> exec
_v_add_co_u32 v12, vcc, v2, v8                     // addrVgpr = D + index*bytes (lo)
_v_addc_co_u32 v13, vcc, v3, v9, vcc               // addrVgpr = D + index*bytes (hi)
s_mov_b64 exec, -1                                 // full mask -1 -> exec
s_sleep 7 // optimization: sync and wait
s_barrier
v_accvgpr_read_b32 v[vgprValuC+16], acc60 // copy acc to vreg[54]
v_accvgpr_read_b32 v[vgprValuC+17], acc61 // copy acc to vreg[55]
s_nop 1                                            // 2 wait states required before reading vgpr

/* rC *= alpha batchElements=[(6, 3, 0, 0)] */
v_mul_f64 v[vgprValuC+16:vgprValuC+16+1], s[sgprAlpha:sgprAlpha+1], v[vgprValuC+16:vgprValuC+16+1] // *= alpha
s_waitcnt vmcnt(0)                                 // wait C

/* apply mask, calc new C and issue writes */
s_mov_b64 exec, s[42:43]                           // sgprs -> exec
v_fma_f64 v[vgprValuC+16:vgprValuC+16+1], v[14:15], s[sgprBeta:sgprBeta+1], v[vgprValuC+16:vgprValuC+16+1] // finalSum = sum*alpha + C*beta
_global_store_b64 v[12:13], v[16:17], off,  sc0 sc1 // store D
s_mov_b64 exec, -1                                 // full mask -> exec
s_nop 0                                            // 1 wait state required when next inst writes vgprs held by previous dwordx4 store inst
/* optSingleColVgpr=0 optSharedColVgpr=0 optSGPRUsage=None optSrdIncForRow=0 */
s_sleep 7 // optimization: sync and wait
s_barrier

/******************************************/
/* Global Write Alpha Beta Edge Batch #28 (d1,d0,vc1,vc0) = */
/*    (7,0,0,0:vw1)                       */
/******************************************/

/* calc coords, apply mask, and issue loads (if necessary) */
/* (d1,vc1,d0,vc0)=(7,0,0,0) */
_v_add_co_u32 v1, vcc, v1, 4                       // coord1.1: coord1Vgpr += d1*sg1*VW + vc1
GLOBAL_OFFSET_C 12, 0, 1, sgprWorkGroup2, 8
v_mov_b32 v8, v12                                  // temp store offset 0
v_mov_b32 v9, v13                                  // temp store offset 1
v_cmp_lt_u32 s[38:39], v0, s[sgprSizesFree+0]      // coord0 < size0
v_cmp_lt_u32 s[40:41], v1, s[sgprSizesFree+1]      // coord1 < size1
s_and_b64 s[42:43], s[38:39], s[40:41]             // in0 && in1
s_mov_b64 exec, s[42:43]                           // sgprs -> exec
_v_add_co_u32 v12, vcc, v4, v8                     // addrVgpr = C + index*bytes (lo)
_v_addc_co_u32 v13, vcc, v5, v9, vcc               // addrVgpr = C + index*bytes (hi)
_global_load_b64 v[14:15], v[12:13], off, offset:0,  sc0 sc1 // load C for beta calc
GLOBAL_OFFSET_D 12, 0, 1, sgprWorkGroup2, 8
v_mov_b32 v8, v12                                  // temp store offset 0
v_mov_b32 v9, v13                                  // temp store offset 1
v_cmp_lt_u32 s[38:39], v0, s[sgprSizesFree+0]      // coord0 < size0
v_cmp_lt_u32 s[40:41], v1, s[sgprSizesFree+1]      // coord1 < size1
s_and_b64 s[42:43], s[38:39], s[40:41]             // in0 && in1
s_mov_b64 exec, s[42:43]                           // sgprs -> exec
_v_add_co_u32 v12, vcc, v2, v8                     // addrVgpr = D + index*bytes (lo)
_v_addc_co_u32 v13, vcc, v3, v9, vcc               // addrVgpr = D + index*bytes (hi)
s_mov_b64 exec, -1                                 // full mask -1 -> exec
s_sleep 7 // optimization: sync and wait
s_barrier
v_accvgpr_read_b32 v[vgprValuC+16], acc38 // copy acc to vreg[56]
v_accvgpr_read_b32 v[vgprValuC+17], acc39 // copy acc to vreg[57]
s_nop 1                                            // 2 wait states required before reading vgpr

/* rC *= alpha batchElements=[(7, 0, 0, 0)] */
v_mul_f64 v[vgprValuC+16:vgprValuC+16+1], s[sgprAlpha:sgprAlpha+1], v[vgprValuC+16:vgprValuC+16+1] // *= alpha
s_waitcnt vmcnt(0)                                 // wait C

/* apply mask, calc new C and issue writes */
s_mov_b64 exec, s[42:43]                           // sgprs -> exec
v_fma_f64 v[vgprValuC+16:vgprValuC+16+1], v[14:15], s[sgprBeta:sgprBeta+1], v[vgprValuC+16:vgprValuC+16+1] // finalSum = sum*alpha + C*beta
_global_store_b64 v[12:13], v[16:17], off,  sc0 sc1 // store D
s_mov_b64 exec, -1                                 // full mask -> exec
s_nop 0                                            // 1 wait state required when next inst writes vgprs held by previous dwordx4 store inst
/* optSingleColVgpr=0 optSharedColVgpr=0 optSGPRUsage=None optSrdIncForRow=0 */
s_sleep 7 // optimization: sync and wait
s_barrier

/******************************************/
/* Global Write Alpha Beta Edge Batch #29 (d1,d0,vc1,vc0) = */
/*    (7,1,0,0:vw1)                       */
/******************************************/

/* calc coords, apply mask, and issue loads (if necessary) */
/* (d1,vc1,d0,vc0)=(7,0,1,0) */
_v_add_co_u32 v6, vcc, v0, 16                      // coord0.1: coord0 += d0*sg0*VW + vc0
GLOBAL_OFFSET_C 12, 6, 1, sgprWorkGroup2, 8
v_mov_b32 v8, v12                                  // temp store offset 0
v_mov_b32 v9, v13                                  // temp store offset 1
v_cmp_lt_u32 s[38:39], v6, s[sgprSizesFree+0]      // coord0 < size0
v_cmp_lt_u32 s[40:41], v1, s[sgprSizesFree+1]      // coord1 < size1
s_and_b64 s[42:43], s[38:39], s[40:41]             // in0 && in1
s_mov_b64 exec, s[42:43]                           // sgprs -> exec
_v_add_co_u32 v12, vcc, v4, v8                     // addrVgpr = C + index*bytes (lo)
_v_addc_co_u32 v13, vcc, v5, v9, vcc               // addrVgpr = C + index*bytes (hi)
_global_load_b64 v[14:15], v[12:13], off, offset:0,  sc0 sc1 // load C for beta calc
GLOBAL_OFFSET_D 12, 6, 1, sgprWorkGroup2, 8
v_mov_b32 v8, v12                                  // temp store offset 0
v_mov_b32 v9, v13                                  // temp store offset 1
v_cmp_lt_u32 s[38:39], v6, s[sgprSizesFree+0]      // coord0 < size0
v_cmp_lt_u32 s[40:41], v1, s[sgprSizesFree+1]      // coord1 < size1
s_and_b64 s[42:43], s[38:39], s[40:41]             // in0 && in1
s_mov_b64 exec, s[42:43]                           // sgprs -> exec
_v_add_co_u32 v12, vcc, v2, v8                     // addrVgpr = D + index*bytes (lo)
_v_addc_co_u32 v13, vcc, v3, v9, vcc               // addrVgpr = D + index*bytes (hi)
s_mov_b64 exec, -1                                 // full mask -1 -> exec
s_sleep 7 // optimization: sync and wait
s_barrier
v_accvgpr_read_b32 v[vgprValuC+16], acc46 // copy acc to vreg[58]
v_accvgpr_read_b32 v[vgprValuC+17], acc47 // copy acc to vreg[59]
s_nop 1                                            // 2 wait states required before reading vgpr

/* rC *= alpha batchElements=[(7, 1, 0, 0)] */
v_mul_f64 v[vgprValuC+16:vgprValuC+16+1], s[sgprAlpha:sgprAlpha+1], v[vgprValuC+16:vgprValuC+16+1] // *= alpha
s_waitcnt vmcnt(0)                                 // wait C

/* apply mask, calc new C and issue writes */
s_mov_b64 exec, s[42:43]                           // sgprs -> exec
v_fma_f64 v[vgprValuC+16:vgprValuC+16+1], v[14:15], s[sgprBeta:sgprBeta+1], v[vgprValuC+16:vgprValuC+16+1] // finalSum = sum*alpha + C*beta
_global_store_b64 v[12:13], v[16:17], off,  sc0 sc1 // store D
s_mov_b64 exec, -1                                 // full mask -> exec
s_nop 0                                            // 1 wait state required when next inst writes vgprs held by previous dwordx4 store inst
/* optSingleColVgpr=0 optSharedColVgpr=0 optSGPRUsage=None optSrdIncForRow=0 */
s_sleep 7 // optimization: sync and wait
s_barrier

/******************************************/
/* Global Write Alpha Beta Edge Batch #30 (d1,d0,vc1,vc0) = */
/*    (7,2,0,0:vw1)                       */
/******************************************/

/* calc coords, apply mask, and issue loads (if necessary) */
/* (d1,vc1,d0,vc0)=(7,0,2,0) */
_v_add_co_u32 v6, vcc, v0, 32                      // coord0.1: coord0 += d0*sg0*VW + vc0
GLOBAL_OFFSET_C 12, 6, 1, sgprWorkGroup2, 8
v_mov_b32 v8, v12                                  // temp store offset 0
v_mov_b32 v9, v13                                  // temp store offset 1
v_cmp_lt_u32 s[38:39], v6, s[sgprSizesFree+0]      // coord0 < size0
v_cmp_lt_u32 s[40:41], v1, s[sgprSizesFree+1]      // coord1 < size1
s_and_b64 s[42:43], s[38:39], s[40:41]             // in0 && in1
s_mov_b64 exec, s[42:43]                           // sgprs -> exec
_v_add_co_u32 v12, vcc, v4, v8                     // addrVgpr = C + index*bytes (lo)
_v_addc_co_u32 v13, vcc, v5, v9, vcc               // addrVgpr = C + index*bytes (hi)
_global_load_b64 v[14:15], v[12:13], off, offset:0,  sc0 sc1 // load C for beta calc
GLOBAL_OFFSET_D 12, 6, 1, sgprWorkGroup2, 8
v_mov_b32 v8, v12                                  // temp store offset 0
v_mov_b32 v9, v13                                  // temp store offset 1
v_cmp_lt_u32 s[38:39], v6, s[sgprSizesFree+0]      // coord0 < size0
v_cmp_lt_u32 s[40:41], v1, s[sgprSizesFree+1]      // coord1 < size1
s_and_b64 s[42:43], s[38:39], s[40:41]             // in0 && in1
s_mov_b64 exec, s[42:43]                           // sgprs -> exec
_v_add_co_u32 v12, vcc, v2, v8                     // addrVgpr = D + index*bytes (lo)
_v_addc_co_u32 v13, vcc, v3, v9, vcc               // addrVgpr = D + index*bytes (hi)
s_mov_b64 exec, -1                                 // full mask -1 -> exec
s_sleep 7 // optimization: sync and wait
s_barrier
v_accvgpr_read_b32 v[vgprValuC+16], acc54 // copy acc to vreg[60]
v_accvgpr_read_b32 v[vgprValuC+17], acc55 // copy acc to vreg[61]
s_nop 1                                            // 2 wait states required before reading vgpr

/* rC *= alpha batchElements=[(7, 2, 0, 0)] */
v_mul_f64 v[vgprValuC+16:vgprValuC+16+1], s[sgprAlpha:sgprAlpha+1], v[vgprValuC+16:vgprValuC+16+1] // *= alpha
s_waitcnt vmcnt(0)                                 // wait C

/* apply mask, calc new C and issue writes */
s_mov_b64 exec, s[42:43]                           // sgprs -> exec
v_fma_f64 v[vgprValuC+16:vgprValuC+16+1], v[14:15], s[sgprBeta:sgprBeta+1], v[vgprValuC+16:vgprValuC+16+1] // finalSum = sum*alpha + C*beta
_global_store_b64 v[12:13], v[16:17], off,  sc0 sc1 // store D
s_mov_b64 exec, -1                                 // full mask -> exec
s_nop 0                                            // 1 wait state required when next inst writes vgprs held by previous dwordx4 store inst
/* optSingleColVgpr=0 optSharedColVgpr=0 optSGPRUsage=None optSrdIncForRow=0 */
s_sleep 7 // optimization: sync and wait
s_barrier

/******************************************/
/* Global Write Alpha Beta Edge Batch #31 (d1,d0,vc1,vc0) = */
/*    (7,3,0,0:vw1)                       */
/******************************************/

/* calc coords, apply mask, and issue loads (if necessary) */
/* (d1,vc1,d0,vc0)=(7,0,3,0) */
_v_add_co_u32 v6, vcc, v0, 48                      // coord0.1: coord0 += d0*sg0*VW + vc0
GLOBAL_OFFSET_C 12, 6, 1, sgprWorkGroup2, 8
v_mov_b32 v8, v12                                  // temp store offset 0
v_mov_b32 v9, v13                                  // temp store offset 1
v_cmp_lt_u32 s[38:39], v6, s[sgprSizesFree+0]      // coord0 < size0
v_cmp_lt_u32 s[40:41], v1, s[sgprSizesFree+1]      // coord1 < size1
s_and_b64 s[42:43], s[38:39], s[40:41]             // in0 && in1
s_mov_b64 exec, s[42:43]                           // sgprs -> exec
_v_add_co_u32 v12, vcc, v4, v8                     // addrVgpr = C + index*bytes (lo)
_v_addc_co_u32 v13, vcc, v5, v9, vcc               // addrVgpr = C + index*bytes (hi)
_global_load_b64 v[14:15], v[12:13], off, offset:0,  sc0 sc1 // load C for beta calc
GLOBAL_OFFSET_D 12, 6, 1, sgprWorkGroup2, 8
v_mov_b32 v8, v12                                  // temp store offset 0
v_mov_b32 v9, v13                                  // temp store offset 1
v_cmp_lt_u32 s[38:39], v6, s[sgprSizesFree+0]      // coord0 < size0
v_cmp_lt_u32 s[40:41], v1, s[sgprSizesFree+1]      // coord1 < size1
s_and_b64 s[42:43], s[38:39], s[40:41]             // in0 && in1
s_mov_b64 exec, s[42:43]                           // sgprs -> exec
_v_add_co_u32 v12, vcc, v2, v8                     // addrVgpr = D + index*bytes (lo)
_v_addc_co_u32 v13, vcc, v3, v9, vcc               // addrVgpr = D + index*bytes (hi)
s_mov_b64 exec, -1                                 // full mask -1 -> exec
s_sleep 7 // optimization: sync and wait
s_barrier
v_accvgpr_read_b32 v[vgprValuC+16], acc62 // copy acc to vreg[62]
v_accvgpr_read_b32 v[vgprValuC+17], acc63 // copy acc to vreg[63]
s_nop 1                                            // 2 wait states required before reading vgpr

/* rC *= alpha batchElements=[(7, 3, 0, 0)] */
v_mul_f64 v[vgprValuC+16:vgprValuC+16+1], s[sgprAlpha:sgprAlpha+1], v[vgprValuC+16:vgprValuC+16+1] // *= alpha
s_waitcnt vmcnt(0)                                 // wait C

/* apply mask, calc new C and issue writes */
s_mov_b64 exec, s[42:43]                           // sgprs -> exec
v_fma_f64 v[vgprValuC+16:vgprValuC+16+1], v[14:15], s[sgprBeta:sgprBeta+1], v[vgprValuC+16:vgprValuC+16+1] // finalSum = sum*alpha + C*beta
_global_store_b64 v[12:13], v[16:17], off,  sc0 sc1 // store D
s_mov_b64 exec, -1                                 // full mask -> exec
s_nop 0                                            // 1 wait state required when next inst writes vgprs held by previous dwordx4 store inst
s_branch label_GW_End_66                           // jump to end
label_GW_End_66:

label_0071:  /// KernelEnd
s_endpgm                                           // Kernel End

